;; amdgpu-corpus repo=ROCm/rocFFT kind=compiled arch=gfx950 opt=O3
	.text
	.amdgcn_target "amdgcn-amd-amdhsa--gfx950"
	.amdhsa_code_object_version 6
	.protected	fft_rtc_back_len1248_factors_2_2_13_2_3_2_2_wgs_52_tpt_52_halfLds_sp_ip_CI_unitstride_sbrr_R2C_dirReg ; -- Begin function fft_rtc_back_len1248_factors_2_2_13_2_3_2_2_wgs_52_tpt_52_halfLds_sp_ip_CI_unitstride_sbrr_R2C_dirReg
	.globl	fft_rtc_back_len1248_factors_2_2_13_2_3_2_2_wgs_52_tpt_52_halfLds_sp_ip_CI_unitstride_sbrr_R2C_dirReg
	.p2align	8
	.type	fft_rtc_back_len1248_factors_2_2_13_2_3_2_2_wgs_52_tpt_52_halfLds_sp_ip_CI_unitstride_sbrr_R2C_dirReg,@function
fft_rtc_back_len1248_factors_2_2_13_2_3_2_2_wgs_52_tpt_52_halfLds_sp_ip_CI_unitstride_sbrr_R2C_dirReg: ; @fft_rtc_back_len1248_factors_2_2_13_2_3_2_2_wgs_52_tpt_52_halfLds_sp_ip_CI_unitstride_sbrr_R2C_dirReg
; %bb.0:
	s_load_dwordx2 s[8:9], s[0:1], 0x50
	s_load_dwordx4 s[4:7], s[0:1], 0x0
	s_load_dwordx2 s[10:11], s[0:1], 0x18
	v_mul_u32_u24_e32 v1, 0x4ed, v0
	v_add_u32_sdwa v6, s2, v1 dst_sel:DWORD dst_unused:UNUSED_PAD src0_sel:DWORD src1_sel:WORD_1
	v_mov_b32_e32 v4, 0
	s_waitcnt lgkmcnt(0)
	v_cmp_lt_u64_e64 s[2:3], s[6:7], 2
	v_mov_b32_e32 v7, v4
	s_and_b64 vcc, exec, s[2:3]
	v_mov_b64_e32 v[2:3], 0
	s_cbranch_vccnz .LBB0_8
; %bb.1:
	s_load_dwordx2 s[2:3], s[0:1], 0x10
	s_add_u32 s12, s10, 8
	s_addc_u32 s13, s11, 0
	s_mov_b64 s[14:15], 1
	v_mov_b64_e32 v[2:3], 0
	s_waitcnt lgkmcnt(0)
	s_add_u32 s16, s2, 8
	s_addc_u32 s17, s3, 0
.LBB0_2:                                ; =>This Inner Loop Header: Depth=1
	s_load_dwordx2 s[18:19], s[16:17], 0x0
                                        ; implicit-def: $vgpr8_vgpr9
	s_waitcnt lgkmcnt(0)
	v_or_b32_e32 v5, s19, v7
	v_cmp_ne_u64_e32 vcc, 0, v[4:5]
	s_and_saveexec_b64 s[2:3], vcc
	s_xor_b64 s[20:21], exec, s[2:3]
	s_cbranch_execz .LBB0_4
; %bb.3:                                ;   in Loop: Header=BB0_2 Depth=1
	v_cvt_f32_u32_e32 v1, s18
	v_cvt_f32_u32_e32 v5, s19
	s_sub_u32 s2, 0, s18
	s_subb_u32 s3, 0, s19
	v_fmac_f32_e32 v1, 0x4f800000, v5
	v_rcp_f32_e32 v1, v1
	s_nop 0
	v_mul_f32_e32 v1, 0x5f7ffffc, v1
	v_mul_f32_e32 v5, 0x2f800000, v1
	v_trunc_f32_e32 v5, v5
	v_fmac_f32_e32 v1, 0xcf800000, v5
	v_cvt_u32_f32_e32 v5, v5
	v_cvt_u32_f32_e32 v1, v1
	v_mul_lo_u32 v8, s2, v5
	v_mul_hi_u32 v10, s2, v1
	v_mul_lo_u32 v9, s3, v1
	v_add_u32_e32 v10, v10, v8
	v_mul_lo_u32 v12, s2, v1
	v_add_u32_e32 v13, v10, v9
	v_mul_hi_u32 v8, v1, v12
	v_mul_hi_u32 v11, v1, v13
	v_mul_lo_u32 v10, v1, v13
	v_mov_b32_e32 v9, v4
	v_lshl_add_u64 v[8:9], v[8:9], 0, v[10:11]
	v_mul_hi_u32 v11, v5, v12
	v_mul_lo_u32 v12, v5, v12
	v_add_co_u32_e32 v8, vcc, v8, v12
	v_mul_hi_u32 v10, v5, v13
	s_nop 0
	v_addc_co_u32_e32 v8, vcc, v9, v11, vcc
	v_mov_b32_e32 v9, v4
	s_nop 0
	v_addc_co_u32_e32 v11, vcc, 0, v10, vcc
	v_mul_lo_u32 v10, v5, v13
	v_lshl_add_u64 v[8:9], v[8:9], 0, v[10:11]
	v_add_co_u32_e32 v1, vcc, v1, v8
	v_mul_lo_u32 v10, s2, v1
	s_nop 0
	v_addc_co_u32_e32 v5, vcc, v5, v9, vcc
	v_mul_lo_u32 v8, s2, v5
	v_mul_hi_u32 v9, s2, v1
	v_add_u32_e32 v8, v9, v8
	v_mul_lo_u32 v9, s3, v1
	v_add_u32_e32 v12, v8, v9
	v_mul_hi_u32 v14, v5, v10
	v_mul_lo_u32 v15, v5, v10
	v_mul_hi_u32 v9, v1, v12
	v_mul_lo_u32 v8, v1, v12
	v_mul_hi_u32 v10, v1, v10
	v_mov_b32_e32 v11, v4
	v_lshl_add_u64 v[8:9], v[10:11], 0, v[8:9]
	v_add_co_u32_e32 v8, vcc, v8, v15
	v_mul_hi_u32 v13, v5, v12
	s_nop 0
	v_addc_co_u32_e32 v8, vcc, v9, v14, vcc
	v_mul_lo_u32 v10, v5, v12
	s_nop 0
	v_addc_co_u32_e32 v11, vcc, 0, v13, vcc
	v_mov_b32_e32 v9, v4
	v_lshl_add_u64 v[8:9], v[8:9], 0, v[10:11]
	v_add_co_u32_e32 v1, vcc, v1, v8
	v_mul_hi_u32 v10, v6, v1
	s_nop 0
	v_addc_co_u32_e32 v5, vcc, v5, v9, vcc
	v_mad_u64_u32 v[8:9], s[2:3], v6, v5, 0
	v_mov_b32_e32 v11, v4
	v_lshl_add_u64 v[8:9], v[10:11], 0, v[8:9]
	v_mad_u64_u32 v[12:13], s[2:3], v7, v1, 0
	v_add_co_u32_e32 v1, vcc, v8, v12
	v_mad_u64_u32 v[10:11], s[2:3], v7, v5, 0
	s_nop 0
	v_addc_co_u32_e32 v8, vcc, v9, v13, vcc
	v_mov_b32_e32 v9, v4
	s_nop 0
	v_addc_co_u32_e32 v11, vcc, 0, v11, vcc
	v_lshl_add_u64 v[8:9], v[8:9], 0, v[10:11]
	v_mul_lo_u32 v1, s19, v8
	v_mul_lo_u32 v5, s18, v9
	v_mad_u64_u32 v[10:11], s[2:3], s18, v8, 0
	v_add3_u32 v1, v11, v5, v1
	v_sub_u32_e32 v5, v7, v1
	v_mov_b32_e32 v11, s19
	v_sub_co_u32_e32 v14, vcc, v6, v10
	v_lshl_add_u64 v[12:13], v[8:9], 0, 1
	s_nop 0
	v_subb_co_u32_e64 v5, s[2:3], v5, v11, vcc
	v_subrev_co_u32_e64 v10, s[2:3], s18, v14
	v_subb_co_u32_e32 v1, vcc, v7, v1, vcc
	s_nop 0
	v_subbrev_co_u32_e64 v5, s[2:3], 0, v5, s[2:3]
	v_cmp_le_u32_e64 s[2:3], s19, v5
	v_cmp_le_u32_e32 vcc, s19, v1
	s_nop 0
	v_cndmask_b32_e64 v11, 0, -1, s[2:3]
	v_cmp_le_u32_e64 s[2:3], s18, v10
	s_nop 1
	v_cndmask_b32_e64 v10, 0, -1, s[2:3]
	v_cmp_eq_u32_e64 s[2:3], s19, v5
	s_nop 1
	v_cndmask_b32_e64 v5, v11, v10, s[2:3]
	v_lshl_add_u64 v[10:11], v[8:9], 0, 2
	v_cmp_ne_u32_e64 s[2:3], 0, v5
	s_nop 1
	v_cndmask_b32_e64 v5, v13, v11, s[2:3]
	v_cndmask_b32_e64 v11, 0, -1, vcc
	v_cmp_le_u32_e32 vcc, s18, v14
	s_nop 1
	v_cndmask_b32_e64 v13, 0, -1, vcc
	v_cmp_eq_u32_e32 vcc, s19, v1
	s_nop 1
	v_cndmask_b32_e32 v1, v11, v13, vcc
	v_cmp_ne_u32_e32 vcc, 0, v1
	v_cndmask_b32_e64 v1, v12, v10, s[2:3]
	s_nop 0
	v_cndmask_b32_e32 v9, v9, v5, vcc
	v_cndmask_b32_e32 v8, v8, v1, vcc
.LBB0_4:                                ;   in Loop: Header=BB0_2 Depth=1
	s_andn2_saveexec_b64 s[2:3], s[20:21]
	s_cbranch_execz .LBB0_6
; %bb.5:                                ;   in Loop: Header=BB0_2 Depth=1
	v_cvt_f32_u32_e32 v1, s18
	s_sub_i32 s20, 0, s18
	v_rcp_iflag_f32_e32 v1, v1
	s_nop 0
	v_mul_f32_e32 v1, 0x4f7ffffe, v1
	v_cvt_u32_f32_e32 v1, v1
	v_mul_lo_u32 v5, s20, v1
	v_mul_hi_u32 v5, v1, v5
	v_add_u32_e32 v1, v1, v5
	v_mul_hi_u32 v1, v6, v1
	v_mul_lo_u32 v5, v1, s18
	v_sub_u32_e32 v5, v6, v5
	v_add_u32_e32 v8, 1, v1
	v_subrev_u32_e32 v9, s18, v5
	v_cmp_le_u32_e32 vcc, s18, v5
	s_nop 1
	v_cndmask_b32_e32 v5, v5, v9, vcc
	v_cndmask_b32_e32 v1, v1, v8, vcc
	v_add_u32_e32 v8, 1, v1
	v_cmp_le_u32_e32 vcc, s18, v5
	v_mov_b32_e32 v9, v4
	s_nop 0
	v_cndmask_b32_e32 v8, v1, v8, vcc
.LBB0_6:                                ;   in Loop: Header=BB0_2 Depth=1
	s_or_b64 exec, exec, s[2:3]
	v_mad_u64_u32 v[10:11], s[2:3], v8, s18, 0
	s_load_dwordx2 s[2:3], s[12:13], 0x0
	v_mul_lo_u32 v1, v9, s18
	v_mul_lo_u32 v5, v8, s19
	v_add3_u32 v1, v11, v5, v1
	v_sub_co_u32_e32 v5, vcc, v6, v10
	s_add_u32 s14, s14, 1
	s_nop 0
	v_subb_co_u32_e32 v1, vcc, v7, v1, vcc
	s_addc_u32 s15, s15, 0
	s_waitcnt lgkmcnt(0)
	v_mul_lo_u32 v1, s2, v1
	v_mul_lo_u32 v6, s3, v5
	v_mad_u64_u32 v[2:3], s[2:3], s2, v5, v[2:3]
	s_add_u32 s12, s12, 8
	v_add3_u32 v3, v6, v3, v1
	s_addc_u32 s13, s13, 0
	v_mov_b64_e32 v[6:7], s[6:7]
	s_add_u32 s16, s16, 8
	v_cmp_ge_u64_e32 vcc, s[14:15], v[6:7]
	s_addc_u32 s17, s17, 0
	s_cbranch_vccnz .LBB0_9
; %bb.7:                                ;   in Loop: Header=BB0_2 Depth=1
	v_mov_b64_e32 v[6:7], v[8:9]
	s_branch .LBB0_2
.LBB0_8:
	v_mov_b64_e32 v[8:9], v[6:7]
.LBB0_9:
	s_lshl_b64 s[2:3], s[6:7], 3
	s_add_u32 s2, s10, s2
	s_addc_u32 s3, s11, s3
	s_load_dwordx2 s[6:7], s[2:3], 0x0
	s_load_dwordx2 s[10:11], s[0:1], 0x20
	s_mov_b32 s2, 0x4ec4ec5
                                        ; implicit-def: $vgpr96
                                        ; implicit-def: $vgpr94
                                        ; implicit-def: $vgpr92
                                        ; implicit-def: $vgpr88
                                        ; implicit-def: $vgpr86
                                        ; implicit-def: $vgpr84
                                        ; implicit-def: $vgpr82
                                        ; implicit-def: $vgpr80
                                        ; implicit-def: $vgpr78
                                        ; implicit-def: $vgpr76
	s_waitcnt lgkmcnt(0)
	v_mul_lo_u32 v1, s6, v9
	v_mul_lo_u32 v4, s7, v8
	v_mad_u64_u32 v[2:3], s[0:1], s6, v8, v[2:3]
	v_add3_u32 v3, v4, v3, v1
	v_mul_hi_u32 v1, v0, s2
	v_mul_u32_u24_e32 v1, 52, v1
	v_sub_u32_e32 v72, v0, v1
	v_cmp_gt_u64_e64 s[0:1], s[10:11], v[8:9]
	v_cmp_le_u64_e32 vcc, s[10:11], v[8:9]
	v_add_u32_e32 v90, 52, v72
	s_and_saveexec_b64 s[2:3], vcc
	s_xor_b64 s[2:3], exec, s[2:3]
; %bb.10:
	v_add_u32_e32 v90, 52, v72
	v_add_u32_e32 v96, 0x68, v72
	;; [unrolled: 1-line block ×11, first 2 shown]
; %bb.11:
	s_or_saveexec_b64 s[2:3], s[2:3]
	v_lshl_add_u64 v[74:75], v[2:3], 3, s[8:9]
	s_xor_b64 exec, exec, s[2:3]
	s_cbranch_execz .LBB0_13
; %bb.12:
	v_mov_b32_e32 v73, 0
	v_lshl_add_u64 v[0:1], v[72:73], 3, v[74:75]
	s_movk_i32 s6, 0x1000
	v_add_co_u32_e32 v18, vcc, s6, v0
	global_load_dwordx2 v[2:3], v[0:1], off
	global_load_dwordx2 v[4:5], v[0:1], off offset:416
	global_load_dwordx2 v[6:7], v[0:1], off offset:832
	;; [unrolled: 1-line block ×7, first 2 shown]
	v_addc_co_u32_e32 v19, vcc, 0, v1, vcc
	global_load_dwordx2 v[20:21], v[0:1], off offset:3328
	global_load_dwordx2 v[22:23], v[0:1], off offset:3744
	;; [unrolled: 1-line block ×8, first 2 shown]
	v_or_b32_e32 v36, 0x340, v72
	v_mov_b32_e32 v37, v73
	v_add_co_u32_e32 v0, vcc, 0x2000, v0
	v_lshl_add_u64 v[36:37], v[36:37], 3, v[74:75]
	s_nop 0
	v_addc_co_u32_e32 v1, vcc, 0, v1, vcc
	global_load_dwordx2 v[38:39], v[18:19], off offset:2976
	global_load_dwordx2 v[40:41], v[18:19], off offset:3392
	global_load_dwordx2 v[42:43], v[36:37], off
	global_load_dwordx2 v[44:45], v[18:19], off offset:3808
	s_nop 0
	global_load_dwordx2 v[18:19], v[0:1], off offset:128
	global_load_dwordx2 v[36:37], v[0:1], off offset:544
	;; [unrolled: 1-line block ×4, first 2 shown]
	v_lshl_add_u32 v0, v72, 3, 0
	v_add_u32_e32 v96, 0x68, v72
	v_add_u32_e32 v94, 0x9c, v72
	;; [unrolled: 1-line block ×16, first 2 shown]
	s_waitcnt vmcnt(22)
	ds_write2_b64 v0, v[2:3], v[4:5] offset1:52
	s_waitcnt vmcnt(18)
	ds_write2_b64 v1, v[10:11], v[12:13] offset0:80 offset1:132
	s_waitcnt vmcnt(16)
	ds_write2_b64 v50, v[14:15], v[16:17] offset0:56 offset1:108
	;; [unrolled: 2-line block ×3, first 2 shown]
	ds_write2_b64 v0, v[6:7], v[8:9] offset0:104 offset1:156
	s_waitcnt vmcnt(12)
	ds_write2_b64 v51, v[24:25], v[26:27] offset0:8 offset1:60
	s_waitcnt vmcnt(10)
	;; [unrolled: 2-line block ×7, first 2 shown]
	ds_write2_b64 v54, v[46:47], v[48:49] offset0:120 offset1:172
.LBB0_13:
	s_or_b64 exec, exec, s[2:3]
	v_lshlrev_b32_e32 v132, 3, v72
	v_add_u32_e32 v130, 0, v132
	v_add_u32_e32 v21, 0x1000, v130
	;; [unrolled: 1-line block ×6, first 2 shown]
	s_waitcnt lgkmcnt(0)
	; wave barrier
	s_waitcnt lgkmcnt(0)
	ds_read2_b64 v[0:3], v21 offset0:8 offset1:60
	ds_read2_b64 v[4:7], v20 offset0:120 offset1:172
	;; [unrolled: 1-line block ×7, first 2 shown]
	v_add_u32_e32 v29, 0x1400, v130
	ds_read2_b64 v[34:37], v22 offset0:64 offset1:116
	ds_read2_b64 v[38:41], v130 offset0:104 offset1:156
	ds_read2_b64 v[42:45], v130 offset1:52
	ds_read2_b64 v[46:49], v21 offset0:112 offset1:164
	ds_read2_b64 v[50:53], v29 offset0:88 offset1:140
	v_add_u32_e32 v54, v130, v132
	s_waitcnt lgkmcnt(0)
	; wave barrier
	s_waitcnt lgkmcnt(0)
	v_pk_add_f32 v[46:47], v[42:43], v[46:47] neg_lo:[0,1] neg_hi:[0,1]
	v_lshl_add_u32 v77, v96, 4, 0
	v_pk_fma_f32 v[42:43], v[42:43], 2.0, v[46:47] op_sel_hi:[1,0,1] neg_lo:[0,0,1] neg_hi:[0,0,1]
	ds_write2_b64 v54, v[42:43], v[46:47] offset1:1
	v_pk_add_f32 v[42:43], v[44:45], v[48:49] neg_lo:[0,1] neg_hi:[0,1]
	v_lshl_add_u32 v46, v90, 4, 0
	v_pk_fma_f32 v[44:45], v[44:45], 2.0, v[42:43] op_sel_hi:[1,0,1] neg_lo:[0,0,1] neg_hi:[0,0,1]
	ds_write2_b64 v46, v[44:45], v[42:43] offset1:1
	v_pk_add_f32 v[42:43], v[38:39], v[50:51] neg_lo:[0,1] neg_hi:[0,1]
	v_pk_add_f32 v[34:35], v[30:31], v[34:35] neg_lo:[0,1] neg_hi:[0,1]
	v_pk_fma_f32 v[38:39], v[38:39], 2.0, v[42:43] op_sel_hi:[1,0,1] neg_lo:[0,0,1] neg_hi:[0,0,1]
	ds_write2_b64 v77, v[38:39], v[42:43] offset1:1
	v_pk_add_f32 v[38:39], v[40:41], v[52:53] neg_lo:[0,1] neg_hi:[0,1]
	v_lshl_add_u32 v79, v94, 4, 0
	v_pk_fma_f32 v[40:41], v[40:41], 2.0, v[38:39] op_sel_hi:[1,0,1] neg_lo:[0,0,1] neg_hi:[0,0,1]
	v_lshl_add_u32 v81, v92, 4, 0
	v_pk_fma_f32 v[30:31], v[30:31], 2.0, v[34:35] op_sel_hi:[1,0,1] neg_lo:[0,0,1] neg_hi:[0,0,1]
	ds_write2_b64 v79, v[40:41], v[38:39] offset1:1
	ds_write2_b64 v81, v[30:31], v[34:35] offset1:1
	v_pk_add_f32 v[30:31], v[32:33], v[36:37] neg_lo:[0,1] neg_hi:[0,1]
	v_pk_add_f32 v[24:25], v[16:17], v[24:25] neg_lo:[0,1] neg_hi:[0,1]
	v_pk_fma_f32 v[32:33], v[32:33], 2.0, v[30:31] op_sel_hi:[1,0,1] neg_lo:[0,0,1] neg_hi:[0,0,1]
	v_lshl_add_u32 v83, v88, 4, 0
	v_lshl_add_u32 v85, v86, 4, 0
	v_pk_fma_f32 v[16:17], v[16:17], 2.0, v[24:25] op_sel_hi:[1,0,1] neg_lo:[0,0,1] neg_hi:[0,0,1]
	ds_write2_b64 v83, v[32:33], v[30:31] offset1:1
	ds_write2_b64 v85, v[16:17], v[24:25] offset1:1
	v_pk_add_f32 v[16:17], v[18:19], v[26:27] neg_lo:[0,1] neg_hi:[0,1]
	v_pk_add_f32 v[4:5], v[0:1], v[4:5] neg_lo:[0,1] neg_hi:[0,1]
	;; [unrolled: 1-line block ×3, first 2 shown]
	v_lshl_add_u32 v87, v84, 4, 0
	v_pk_fma_f32 v[18:19], v[18:19], 2.0, v[16:17] op_sel_hi:[1,0,1] neg_lo:[0,0,1] neg_hi:[0,0,1]
	v_lshl_add_u32 v89, v82, 4, 0
	v_pk_add_f32 v[6:7], v[2:3], v[6:7] neg_lo:[0,1] neg_hi:[0,1]
	v_pk_fma_f32 v[0:1], v[0:1], 2.0, v[4:5] op_sel_hi:[1,0,1] neg_lo:[0,0,1] neg_hi:[0,0,1]
	v_pk_add_f32 v[14:15], v[10:11], v[14:15] neg_lo:[0,1] neg_hi:[0,1]
	v_pk_fma_f32 v[8:9], v[8:9], 2.0, v[12:13] op_sel_hi:[1,0,1] neg_lo:[0,0,1] neg_hi:[0,0,1]
	v_and_b32_e32 v56, 1, v72
	v_lshl_add_u32 v91, v80, 4, 0
	ds_write2_b64 v87, v[18:19], v[16:17] offset1:1
	v_lshl_add_u32 v93, v78, 4, 0
	v_lshl_add_u32 v95, v76, 4, 0
	v_pk_fma_f32 v[2:3], v[2:3], 2.0, v[6:7] op_sel_hi:[1,0,1] neg_lo:[0,0,1] neg_hi:[0,0,1]
	v_pk_fma_f32 v[10:11], v[10:11], 2.0, v[14:15] op_sel_hi:[1,0,1] neg_lo:[0,0,1] neg_hi:[0,0,1]
	ds_write2_b64 v89, v[8:9], v[12:13] offset1:1
	ds_write2_b64 v91, v[10:11], v[14:15] offset1:1
	;; [unrolled: 1-line block ×4, first 2 shown]
	v_lshlrev_b32_e32 v0, 3, v56
	s_waitcnt lgkmcnt(0)
	; wave barrier
	s_waitcnt lgkmcnt(0)
	global_load_dwordx2 v[30:31], v0, s[4:5]
	ds_read2_b64 v[0:3], v21 offset0:112 offset1:164
	v_lshlrev_b32_e32 v98, 1, v72
	v_lshlrev_b32_e32 v97, 3, v94
	s_movk_i32 s2, 0x7c
	v_sub_u32_e32 v4, v79, v97
	v_and_or_b32 v5, v98, s2, v56
	v_lshl_add_u32 v57, v5, 3, 0
	ds_read_b64 v[32:33], v4
	ds_read_b64 v[4:5], v130
	v_lshlrev_b32_e32 v73, 3, v96
	v_sub_u32_e32 v10, v77, v73
	v_lshlrev_b32_e32 v99, 3, v92
	v_lshlrev_b32_e32 v101, 3, v88
	;; [unrolled: 1-line block ×4, first 2 shown]
	v_lshl_add_u32 v131, v90, 3, 0
	v_lshlrev_b32_e32 v135, 3, v82
	v_lshlrev_b32_e32 v136, 3, v80
	;; [unrolled: 1-line block ×4, first 2 shown]
	s_movk_i32 s2, 0xfc
	v_lshlrev_b32_e32 v100, 1, v90
	s_movk_i32 s3, 0x2fc
	v_cmp_gt_u32_e32 vcc, 44, v72
	s_waitcnt vmcnt(0) lgkmcnt(2)
	v_pk_mul_f32 v[6:7], v[30:31], v[0:1] op_sel:[0,1]
	s_nop 0
	v_pk_fma_f32 v[8:9], v[30:31], v[0:1], v[6:7] op_sel:[0,0,1] op_sel_hi:[1,1,0]
	v_pk_fma_f32 v[0:1], v[30:31], v[0:1], v[6:7] op_sel:[0,0,1] op_sel_hi:[1,0,0] neg_lo:[1,0,0] neg_hi:[1,0,0]
	v_sub_u32_e32 v6, v85, v133
	v_mov_b32_e32 v9, v1
	s_waitcnt lgkmcnt(0)
	v_pk_add_f32 v[36:37], v[4:5], v[8:9] neg_lo:[0,1] neg_hi:[0,1]
	ds_read_b64 v[0:1], v10
	ds_read_b64 v[34:35], v131
	v_pk_fma_f32 v[38:39], v[4:5], 2.0, v[36:37] op_sel_hi:[1,0,1] neg_lo:[0,0,1] neg_hi:[0,0,1]
	v_sub_u32_e32 v4, v81, v99
	v_sub_u32_e32 v5, v83, v101
	;; [unrolled: 1-line block ×3, first 2 shown]
	ds_read_b64 v[40:41], v4
	ds_read_b64 v[42:43], v5
	;; [unrolled: 1-line block ×4, first 2 shown]
	v_sub_u32_e32 v4, v89, v135
	v_sub_u32_e32 v5, v91, v136
	;; [unrolled: 1-line block ×4, first 2 shown]
	ds_read_b64 v[48:49], v4
	ds_read_b64 v[50:51], v5
	;; [unrolled: 1-line block ×4, first 2 shown]
	ds_read2_b64 v[4:7], v29 offset0:88 offset1:140
	ds_read2_b64 v[8:11], v22 offset0:168 offset1:220
	;; [unrolled: 1-line block ×5, first 2 shown]
	s_waitcnt lgkmcnt(0)
	; wave barrier
	s_waitcnt lgkmcnt(0)
	ds_write2_b64 v57, v[38:39], v[36:37] offset1:2
	v_pk_mul_f32 v[36:37], v[30:31], v[2:3] op_sel:[0,1]
	s_nop 0
	v_pk_fma_f32 v[38:39], v[30:31], v[2:3], v[36:37] op_sel:[0,0,1] op_sel_hi:[1,1,0]
	v_pk_fma_f32 v[2:3], v[30:31], v[2:3], v[36:37] op_sel:[0,0,1] op_sel_hi:[1,0,0] neg_lo:[1,0,0] neg_hi:[1,0,0]
	s_nop 0
	v_mov_b32_e32 v39, v3
	v_and_or_b32 v2, v100, s2, v56
	v_lshl_add_u32 v36, v2, 3, 0
	v_pk_add_f32 v[2:3], v[34:35], v[38:39] neg_lo:[0,1] neg_hi:[0,1]
	s_movk_i32 s2, 0x1fc
	v_pk_fma_f32 v[34:35], v[34:35], 2.0, v[2:3] op_sel_hi:[1,0,1] neg_lo:[0,0,1] neg_hi:[0,0,1]
	ds_write2_b64 v36, v[34:35], v[2:3] offset1:2
	v_pk_mul_f32 v[2:3], v[30:31], v[4:5] op_sel:[0,1]
	s_nop 0
	v_pk_fma_f32 v[34:35], v[30:31], v[4:5], v[2:3] op_sel:[0,0,1] op_sel_hi:[1,1,0]
	v_pk_fma_f32 v[2:3], v[30:31], v[4:5], v[2:3] op_sel:[0,0,1] op_sel_hi:[1,0,0] neg_lo:[1,0,0] neg_hi:[1,0,0]
	s_nop 0
	v_lshlrev_b32_e32 v2, 1, v96
	v_mov_b32_e32 v35, v3
	v_and_or_b32 v2, v2, s2, v56
	v_lshl_add_u32 v4, v2, 3, 0
	v_pk_add_f32 v[2:3], v[0:1], v[34:35] neg_lo:[0,1] neg_hi:[0,1]
	s_nop 0
	v_pk_fma_f32 v[0:1], v[0:1], 2.0, v[2:3] op_sel_hi:[1,0,1] neg_lo:[0,0,1] neg_hi:[0,0,1]
	ds_write2_b64 v4, v[0:1], v[2:3] offset1:2
	v_pk_mul_f32 v[0:1], v[30:31], v[6:7] op_sel:[0,1]
	s_nop 0
	v_pk_fma_f32 v[2:3], v[30:31], v[6:7], v[0:1] op_sel:[0,0,1] op_sel_hi:[1,1,0]
	v_pk_fma_f32 v[0:1], v[30:31], v[6:7], v[0:1] op_sel:[0,0,1] op_sel_hi:[1,0,0] neg_lo:[1,0,0] neg_hi:[1,0,0]
	s_nop 0
	v_lshlrev_b32_e32 v0, 1, v94
	v_mov_b32_e32 v3, v1
	v_and_or_b32 v0, v0, s2, v56
	v_lshl_add_u32 v4, v0, 3, 0
	v_pk_add_f32 v[0:1], v[32:33], v[2:3] neg_lo:[0,1] neg_hi:[0,1]
	s_movk_i32 s2, 0x3fc
	v_pk_fma_f32 v[2:3], v[32:33], 2.0, v[0:1] op_sel_hi:[1,0,1] neg_lo:[0,0,1] neg_hi:[0,0,1]
	ds_write2_b64 v4, v[2:3], v[0:1] offset1:2
	v_pk_mul_f32 v[0:1], v[24:25], v[30:31] op_sel:[0,1]
	s_nop 0
	v_pk_fma_f32 v[2:3], v[24:25], v[30:31], v[0:1] op_sel:[0,0,1] op_sel_hi:[1,1,0]
	v_pk_fma_f32 v[0:1], v[24:25], v[30:31], v[0:1] op_sel:[0,0,1] op_sel_hi:[1,0,0] neg_lo:[0,0,1] neg_hi:[0,0,1]
	s_nop 0
	v_lshlrev_b32_e32 v0, 1, v92
	v_mov_b32_e32 v3, v1
	v_and_or_b32 v0, v0, s2, v56
	v_lshl_add_u32 v4, v0, 3, 0
	v_pk_add_f32 v[0:1], v[40:41], v[2:3] neg_lo:[0,1] neg_hi:[0,1]
	s_nop 0
	v_pk_fma_f32 v[2:3], v[40:41], 2.0, v[0:1] op_sel_hi:[1,0,1] neg_lo:[0,0,1] neg_hi:[0,0,1]
	ds_write2_b64 v4, v[2:3], v[0:1] offset1:2
	v_pk_mul_f32 v[0:1], v[26:27], v[30:31] op_sel:[0,1]
	s_nop 0
	v_pk_fma_f32 v[2:3], v[26:27], v[30:31], v[0:1] op_sel:[0,0,1] op_sel_hi:[1,1,0]
	v_pk_fma_f32 v[0:1], v[26:27], v[30:31], v[0:1] op_sel:[0,0,1] op_sel_hi:[1,0,0] neg_lo:[0,0,1] neg_hi:[0,0,1]
	s_nop 0
	v_lshlrev_b32_e32 v0, 1, v88
	v_mov_b32_e32 v3, v1
	v_and_or_b32 v0, v0, s3, v56
	v_lshl_add_u32 v4, v0, 3, 0
	v_pk_add_f32 v[0:1], v[42:43], v[2:3] neg_lo:[0,1] neg_hi:[0,1]
	s_nop 0
	v_pk_fma_f32 v[2:3], v[42:43], 2.0, v[0:1] op_sel_hi:[1,0,1] neg_lo:[0,0,1] neg_hi:[0,0,1]
	ds_write2_b64 v4, v[2:3], v[0:1] offset1:2
	v_pk_mul_f32 v[4:5], v[12:13], v[30:31] op_sel:[0,1]
	v_pk_mul_f32 v[0:1], v[14:15], v[30:31] op_sel:[0,1]
	v_pk_fma_f32 v[6:7], v[12:13], v[30:31], v[4:5] op_sel:[0,0,1] op_sel_hi:[1,1,0]
	v_pk_fma_f32 v[4:5], v[12:13], v[30:31], v[4:5] op_sel:[0,0,1] op_sel_hi:[1,0,0] neg_lo:[0,0,1] neg_hi:[0,0,1]
	v_pk_mul_f32 v[12:13], v[18:19], v[30:31] op_sel:[0,1]
	v_pk_fma_f32 v[2:3], v[14:15], v[30:31], v[0:1] op_sel:[0,0,1] op_sel_hi:[1,1,0]
	v_pk_fma_f32 v[24:25], v[18:19], v[30:31], v[12:13] op_sel:[0,0,1] op_sel_hi:[1,1,0]
	v_pk_fma_f32 v[26:27], v[18:19], v[30:31], v[12:13] op_sel:[0,0,1] op_sel_hi:[1,0,0] neg_lo:[0,0,1] neg_hi:[0,0,1]
	v_pk_mul_f32 v[12:13], v[16:17], v[30:31] op_sel:[0,1]
	v_pk_fma_f32 v[0:1], v[14:15], v[30:31], v[0:1] op_sel:[0,0,1] op_sel_hi:[1,0,0] neg_lo:[0,0,1] neg_hi:[0,0,1]
	v_pk_fma_f32 v[32:33], v[16:17], v[30:31], v[12:13] op_sel:[0,0,1] op_sel_hi:[1,1,0]
	v_pk_fma_f32 v[34:35], v[16:17], v[30:31], v[12:13] op_sel:[0,0,1] op_sel_hi:[1,0,0] neg_lo:[0,0,1] neg_hi:[0,0,1]
	v_pk_mul_f32 v[12:13], v[10:11], v[30:31]
	v_pk_mul_f32 v[14:15], v[8:9], v[30:31] op_sel:[0,1]
	v_mov_b32_e32 v0, v13
	v_pk_fma_f32 v[36:37], v[10:11], v[30:31], v[0:1]
	v_mov_b32_e32 v0, v31
	v_pk_mul_f32 v[12:13], v[10:11], v[0:1]
	v_mov_b32_e32 v0, v11
	v_pk_fma_f32 v[16:17], v[8:9], v[30:31], v[14:15] op_sel:[0,0,1] op_sel_hi:[1,1,0]
	v_pk_fma_f32 v[8:9], v[8:9], v[30:31], v[14:15] op_sel:[0,0,1] op_sel_hi:[1,0,0] neg_lo:[0,0,1] neg_hi:[0,0,1]
	v_pk_fma_f32 v[30:31], v[0:1], v[30:31], v[12:13] neg_lo:[0,0,1] neg_hi:[0,0,1]
	v_mov_b32_e32 v25, v27
	v_mov_b32_e32 v17, v9
	v_lshlrev_b32_e32 v0, 1, v86
	v_mov_b32_e32 v7, v5
	v_pk_add_f32 v[10:11], v[50:51], v[24:25] neg_lo:[0,1] neg_hi:[0,1]
	v_mov_b32_e32 v37, v30
	v_lshlrev_b32_e32 v24, 1, v84
	v_pk_add_f32 v[102:103], v[44:45], v[16:17] neg_lo:[0,1] neg_hi:[0,1]
	v_and_or_b32 v0, v0, s3, v56
	v_mov_b32_e32 v3, v1
	v_pk_add_f32 v[14:15], v[52:53], v[6:7] neg_lo:[0,1] neg_hi:[0,1]
	v_mov_b32_e32 v33, v35
	v_pk_add_f32 v[6:7], v[46:47], v[36:37] neg_lo:[0,1] neg_hi:[0,1]
	v_and_or_b32 v24, v24, s2, v56
	v_lshlrev_b32_e32 v25, 1, v82
	v_lshl_add_u32 v0, v0, 3, 0
	v_pk_fma_f32 v[8:9], v[44:45], 2.0, v[102:103] op_sel_hi:[1,0,1] neg_lo:[0,0,1] neg_hi:[0,0,1]
	v_pk_add_f32 v[18:19], v[54:55], v[2:3] neg_lo:[0,1] neg_hi:[0,1]
	v_pk_add_f32 v[2:3], v[48:49], v[32:33] neg_lo:[0,1] neg_hi:[0,1]
	v_pk_fma_f32 v[4:5], v[46:47], 2.0, v[6:7] op_sel_hi:[1,0,1] neg_lo:[0,0,1] neg_hi:[0,0,1]
	v_and_or_b32 v25, v25, s2, v56
	s_movk_i32 s2, 0x7fc
	v_lshlrev_b32_e32 v26, 1, v80
	v_lshl_add_u32 v24, v24, 3, 0
	ds_write2_b64 v0, v[8:9], v[102:103] offset1:2
	v_pk_fma_f32 v[0:1], v[48:49], 2.0, v[2:3] op_sel_hi:[1,0,1] neg_lo:[0,0,1] neg_hi:[0,0,1]
	v_and_or_b32 v26, v26, s2, v56
	s_movk_i32 s2, 0x4fc
	v_lshlrev_b32_e32 v27, 1, v78
	ds_write2_b64 v24, v[4:5], v[6:7] offset1:2
	v_lshl_add_u32 v24, v25, 3, 0
	v_pk_fma_f32 v[8:9], v[50:51], 2.0, v[10:11] op_sel_hi:[1,0,1] neg_lo:[0,0,1] neg_hi:[0,0,1]
	v_and_or_b32 v27, v27, s2, v56
	v_lshlrev_b32_e32 v30, 1, v76
	ds_write2_b64 v24, v[0:1], v[2:3] offset1:2
	v_lshl_add_u32 v24, v26, 3, 0
	v_pk_fma_f32 v[12:13], v[52:53], 2.0, v[14:15] op_sel_hi:[1,0,1] neg_lo:[0,0,1] neg_hi:[0,0,1]
	v_and_or_b32 v30, v30, s2, v56
	ds_write2_b64 v24, v[8:9], v[10:11] offset1:2
	v_lshl_add_u32 v24, v27, 3, 0
	v_pk_fma_f32 v[16:17], v[54:55], 2.0, v[18:19] op_sel_hi:[1,0,1] neg_lo:[0,0,1] neg_hi:[0,0,1]
	ds_write2_b64 v24, v[12:13], v[14:15] offset1:2
	v_lshl_add_u32 v24, v30, 3, 0
	ds_write2_b64 v24, v[16:17], v[18:19] offset1:2
	v_add_u32_e32 v24, 0x1c00, v130
	s_waitcnt lgkmcnt(0)
	; wave barrier
	s_waitcnt lgkmcnt(0)
	ds_read_b64 v[104:105], v130 offset:9216
	ds_read2_b64 v[68:71], v23 offset0:64 offset1:160
	ds_read2_b64 v[52:55], v24 offset0:64 offset1:160
	ds_read2_b64 v[24:27], v130 offset1:96
	ds_read2_b64 v[64:67], v28 offset0:128 offset1:224
	ds_read2_b64 v[60:63], v21 offset0:64 offset1:160
	ds_read2_b64 v[56:59], v22 offset1:96
                                        ; implicit-def: $vgpr23
	s_and_saveexec_b64 s[2:3], vcc
	s_cbranch_execz .LBB0_15
; %bb.14:
	ds_read_b64 v[102:103], v131
	ds_read2_b64 v[4:7], v130 offset0:148 offset1:244
	ds_read2_b64 v[0:3], v28 offset0:84 offset1:180
	;; [unrolled: 1-line block ×6, first 2 shown]
.LBB0_15:
	s_or_b64 exec, exec, s[2:3]
	v_and_b32_e32 v139, 3, v72
	v_mul_u32_u24_e32 v28, 12, v139
	v_lshlrev_b32_e32 v106, 3, v28
	global_load_dwordx4 v[32:35], v106, s[4:5] offset:16
	global_load_dwordx4 v[28:31], v106, s[4:5] offset:32
	global_load_dwordx4 v[36:39], v106, s[4:5] offset:48
	global_load_dwordx4 v[40:43], v106, s[4:5] offset:64
	global_load_dwordx4 v[44:47], v106, s[4:5] offset:80
	global_load_dwordx4 v[48:51], v106, s[4:5] offset:96
	s_mov_b32 s30, 0xbeedf032
	s_mov_b32 s14, 0xbf7e222b
	;; [unrolled: 1-line block ×12, first 2 shown]
	s_waitcnt lgkmcnt(0)
	; wave barrier
	s_waitcnt lgkmcnt(0)
	s_mov_b32 s34, 0x3f29c268
	s_mov_b32 s26, 0x3f7e222b
	;; [unrolled: 1-line block ×6, first 2 shown]
	s_waitcnt vmcnt(5)
	v_pk_mul_f32 v[106:107], v[32:33], v[26:27] op_sel:[0,1]
	v_pk_mul_f32 v[108:109], v[34:35], v[68:69] op_sel:[0,1]
	s_waitcnt vmcnt(4)
	v_pk_mul_f32 v[110:111], v[28:29], v[70:71] op_sel:[0,1]
	v_pk_mul_f32 v[112:113], v[30:31], v[64:65] op_sel:[0,1]
	;; [unrolled: 3-line block ×4, first 2 shown]
	s_waitcnt vmcnt(1)
	v_pk_mul_f32 v[122:123], v[58:59], v[44:45] op_sel:[0,1]
	v_mov_b32_e32 v124, v47
	s_waitcnt vmcnt(0)
	v_pk_mul_f32 v[126:127], v[54:55], v[48:49] op_sel:[0,1]
	v_mov_b32_e32 v128, v51
	v_pk_fma_f32 v[140:141], v[34:35], v[68:69], v[108:109] op_sel:[0,0,1] op_sel_hi:[1,1,0]
	v_pk_fma_f32 v[68:69], v[34:35], v[68:69], v[108:109] op_sel:[0,0,1] op_sel_hi:[1,0,0] neg_lo:[1,0,0] neg_hi:[1,0,0]
	v_pk_fma_f32 v[108:109], v[28:29], v[70:71], v[110:111] op_sel:[0,0,1] op_sel_hi:[1,1,0]
	v_pk_fma_f32 v[70:71], v[28:29], v[70:71], v[110:111] op_sel:[0,0,1] op_sel_hi:[1,0,0] neg_lo:[1,0,0] neg_hi:[1,0,0]
	;; [unrolled: 2-line block ×9, first 2 shown]
	v_pk_mul_f32 v[106:107], v[52:53], v[124:125] op_sel_hi:[1,0]
	v_pk_fma_f32 v[124:125], v[54:55], v[48:49], v[126:127] op_sel:[0,0,1] op_sel_hi:[1,1,0]
	v_pk_fma_f32 v[54:55], v[54:55], v[48:49], v[126:127] op_sel:[0,0,1] op_sel_hi:[1,0,0] neg_lo:[0,0,1] neg_hi:[0,0,1]
	v_pk_mul_f32 v[126:127], v[104:105], v[128:129] op_sel_hi:[1,0]
	v_mov_b32_e32 v123, v27
	v_mov_b32_e32 v117, v63
	v_pk_fma_f32 v[62:63], v[52:53], v[46:47], v[106:107] op_sel:[0,0,1] op_sel_hi:[1,1,0]
	v_pk_fma_f32 v[26:27], v[52:53], v[46:47], v[106:107] op_sel:[0,0,1] op_sel_hi:[1,0,0] neg_lo:[0,0,1] neg_hi:[0,0,1]
	v_mov_b32_e32 v141, v69
	v_mov_b32_e32 v111, v65
	v_pk_fma_f32 v[64:65], v[104:105], v[50:51], v[126:127] op_sel:[0,0,1] op_sel_hi:[1,1,0]
	v_pk_fma_f32 v[52:53], v[104:105], v[50:51], v[126:127] op_sel:[0,0,1] op_sel_hi:[1,0,0] neg_lo:[0,0,1] neg_hi:[0,0,1]
	v_mov_b32_e32 v63, v27
	v_pk_add_f32 v[26:27], v[122:123], v[24:25]
	v_mov_b32_e32 v109, v71
	v_mov_b32_e32 v65, v53
	v_pk_add_f32 v[26:27], v[26:27], v[140:141]
	v_mov_b32_e32 v125, v55
	v_pk_add_f32 v[146:147], v[122:123], v[64:65] neg_lo:[0,1] neg_hi:[0,1]
	v_pk_add_f32 v[150:151], v[108:109], v[62:63] neg_lo:[0,1] neg_hi:[0,1]
	v_pk_add_f32 v[54:55], v[26:27], v[108:109]
	v_mov_b32_e32 v113, v67
	v_mov_b32_e32 v119, v57
	v_pk_add_f32 v[142:143], v[140:141], v[124:125]
	v_pk_add_f32 v[144:145], v[140:141], v[124:125] neg_lo:[0,1] neg_hi:[0,1]
	v_pk_add_f32 v[140:141], v[122:123], v[64:65]
	v_pk_add_f32 v[148:149], v[108:109], v[62:63]
	v_pk_mul_f32 v[56:57], v[146:147], s[30:31] op_sel:[1,0] op_sel_hi:[0,0]
	v_pk_mul_f32 v[66:67], v[150:151], s[14:15] op_sel:[1,0] op_sel_hi:[0,0]
	v_pk_add_f32 v[68:69], v[54:55], v[110:111]
	v_mov_b32_e32 v115, v61
	v_mov_b32_e32 v121, v59
	v_pk_fma_f32 v[58:59], v[140:141], s[2:3], v[56:57] op_sel_hi:[1,0,1]
	v_pk_fma_f32 v[60:61], v[140:141], s[2:3], v[56:57] op_sel_hi:[1,0,1] neg_lo:[0,0,1] neg_hi:[0,0,1]
	v_pk_fma_f32 v[54:55], v[148:149], s[8:9], v[66:67] op_sel_hi:[1,0,1]
	v_pk_fma_f32 v[56:57], v[148:149], s[8:9], v[66:67] op_sel_hi:[1,0,1] neg_lo:[0,0,1] neg_hi:[0,0,1]
	v_pk_add_f32 v[66:67], v[68:69], v[112:113]
	v_pk_mul_f32 v[52:53], v[144:145], s[10:11] op_sel:[1,0] op_sel_hi:[0,0]
	v_pk_add_f32 v[66:67], v[66:67], v[114:115]
	v_pk_fma_f32 v[26:27], v[142:143], s[6:7], v[52:53] op_sel_hi:[1,0,1]
	v_pk_add_f32 v[66:67], v[66:67], v[116:117]
	v_pk_fma_f32 v[52:53], v[142:143], s[6:7], v[52:53] op_sel_hi:[1,0,1] neg_lo:[0,0,1] neg_hi:[0,0,1]
	v_pk_add_f32 v[66:67], v[66:67], v[118:119]
	v_mov_b32_e32 v68, v58
	v_pk_add_f32 v[66:67], v[66:67], v[120:121]
	v_mov_b32_e32 v69, v61
	;; [unrolled: 2-line block ×3, first 2 shown]
	v_mov_b32_e32 v71, v53
	v_pk_add_f32 v[68:69], v[68:69], v[24:25]
	v_pk_add_f32 v[62:63], v[62:63], v[124:125]
	v_pk_add_f32 v[154:155], v[110:111], v[120:121] neg_lo:[0,1] neg_hi:[0,1]
	v_pk_add_f32 v[68:69], v[70:71], v[68:69]
	v_pk_add_f32 v[106:107], v[62:63], v[64:65]
	v_mov_b32_e32 v62, v54
	v_mov_b32_e32 v63, v57
	v_pk_add_f32 v[152:153], v[110:111], v[120:121]
	v_pk_mul_f32 v[64:65], v[154:155], s[18:19] op_sel:[1,0] op_sel_hi:[0,0]
	v_pk_add_f32 v[66:67], v[62:63], v[68:69]
	v_pk_fma_f32 v[62:63], v[152:153], s[12:13], v[64:65] op_sel_hi:[1,0,1]
	v_pk_fma_f32 v[64:65], v[152:153], s[12:13], v[64:65] op_sel_hi:[1,0,1] neg_lo:[0,0,1] neg_hi:[0,0,1]
	v_mov_b32_e32 v68, v62
	v_mov_b32_e32 v69, v65
	v_pk_add_f32 v[158:159], v[112:113], v[118:119] neg_lo:[0,1] neg_hi:[0,1]
	v_pk_add_f32 v[70:71], v[68:69], v[66:67]
	v_pk_add_f32 v[156:157], v[112:113], v[118:119]
	v_pk_mul_f32 v[68:69], v[158:159], s[20:21] op_sel:[1,0] op_sel_hi:[0,0]
	v_pk_fma_f32 v[66:67], v[156:157], s[16:17], v[68:69] op_sel_hi:[1,0,1]
	v_pk_fma_f32 v[68:69], v[156:157], s[16:17], v[68:69] op_sel_hi:[1,0,1] neg_lo:[0,0,1] neg_hi:[0,0,1]
	v_mov_b32_e32 v104, v66
	v_mov_b32_e32 v105, v69
	v_pk_add_f32 v[162:163], v[114:115], v[116:117] neg_lo:[0,1] neg_hi:[0,1]
	v_pk_add_f32 v[108:109], v[104:105], v[70:71]
	v_pk_add_f32 v[160:161], v[114:115], v[116:117]
	v_pk_mul_f32 v[104:105], v[162:163], s[24:25] op_sel:[1,0] op_sel_hi:[0,0]
	v_lshrrev_b32_e32 v26, 2, v72
	v_pk_fma_f32 v[70:71], v[160:161], s[22:23], v[104:105] op_sel_hi:[1,0,1]
	v_pk_fma_f32 v[104:105], v[160:161], s[22:23], v[104:105] op_sel_hi:[1,0,1] neg_lo:[0,0,1] neg_hi:[0,0,1]
	v_mul_u32_u24_e32 v26, 52, v26
	v_mov_b32_e32 v110, v70
	v_mov_b32_e32 v111, v105
	v_or_b32_e32 v26, v26, v139
	v_pk_add_f32 v[108:109], v[110:111], v[108:109]
	v_lshl_add_u32 v26, v26, 3, 0
	ds_write2_b64 v26, v[106:107], v[108:109] offset1:4
	v_pk_mul_f32 v[108:109], v[146:147], s[10:11] op_sel:[1,0] op_sel_hi:[0,0]
	v_pk_fma_f32 v[106:107], v[140:141], s[6:7], v[108:109] op_sel_hi:[1,0,1]
	v_pk_fma_f32 v[108:109], v[140:141], s[6:7], v[108:109] op_sel_hi:[1,0,1] neg_lo:[0,0,1] neg_hi:[0,0,1]
	v_mov_b32_e32 v110, v106
	v_mov_b32_e32 v111, v109
	v_pk_mul_f32 v[112:113], v[144:145], s[18:19] op_sel:[1,0] op_sel_hi:[0,0]
	v_pk_add_f32 v[114:115], v[110:111], v[24:25]
	v_pk_fma_f32 v[110:111], v[142:143], s[12:13], v[112:113] op_sel_hi:[1,0,1]
	v_pk_fma_f32 v[112:113], v[142:143], s[12:13], v[112:113] op_sel_hi:[1,0,1] neg_lo:[0,0,1] neg_hi:[0,0,1]
	v_mov_b32_e32 v116, v110
	v_mov_b32_e32 v117, v113
	v_pk_add_f32 v[118:119], v[116:117], v[114:115]
	v_pk_mul_f32 v[116:117], v[150:151], s[24:25] op_sel:[1,0] op_sel_hi:[0,0]
	v_pk_fma_f32 v[114:115], v[148:149], s[22:23], v[116:117] op_sel_hi:[1,0,1]
	v_pk_fma_f32 v[116:117], v[148:149], s[22:23], v[116:117] op_sel_hi:[1,0,1] neg_lo:[0,0,1] neg_hi:[0,0,1]
	v_mov_b32_e32 v120, v114
	v_mov_b32_e32 v121, v117
	v_pk_add_f32 v[122:123], v[120:121], v[118:119]
	v_pk_mul_f32 v[120:121], v[154:155], s[34:35] op_sel:[1,0] op_sel_hi:[0,0]
	;; [unrolled: 6-line block ×5, first 2 shown]
	v_pk_fma_f32 v[168:169], v[140:141], s[8:9], v[166:167] op_sel_hi:[1,0,1]
	v_pk_fma_f32 v[166:167], v[140:141], s[8:9], v[166:167] op_sel_hi:[1,0,1] neg_lo:[0,0,1] neg_hi:[0,0,1]
	v_pk_mul_f32 v[172:173], v[144:145], s[24:25] op_sel:[1,0] op_sel_hi:[0,0]
	v_mov_b32_e32 v170, v168
	v_mov_b32_e32 v171, v167
	v_pk_fma_f32 v[174:175], v[142:143], s[22:23], v[172:173] op_sel_hi:[1,0,1]
	v_pk_fma_f32 v[172:173], v[142:143], s[22:23], v[172:173] op_sel_hi:[1,0,1] neg_lo:[0,0,1] neg_hi:[0,0,1]
	v_pk_add_f32 v[170:171], v[170:171], v[24:25]
	v_mov_b32_e32 v176, v174
	v_mov_b32_e32 v177, v173
	v_pk_add_f32 v[170:171], v[176:177], v[170:171]
	v_pk_mul_f32 v[176:177], v[150:151], s[40:41] op_sel:[1,0] op_sel_hi:[0,0]
	v_pk_fma_f32 v[178:179], v[148:149], s[12:13], v[176:177] op_sel_hi:[1,0,1]
	v_pk_fma_f32 v[176:177], v[148:149], s[12:13], v[176:177] op_sel_hi:[1,0,1] neg_lo:[0,0,1] neg_hi:[0,0,1]
	v_mov_b32_e32 v180, v178
	v_mov_b32_e32 v181, v177
	v_pk_add_f32 v[170:171], v[180:181], v[170:171]
	v_pk_mul_f32 v[180:181], v[154:155], s[28:29] op_sel:[1,0] op_sel_hi:[0,0]
	v_pk_fma_f32 v[182:183], v[152:153], s[2:3], v[180:181] op_sel_hi:[1,0,1]
	v_pk_fma_f32 v[180:181], v[152:153], s[2:3], v[180:181] op_sel_hi:[1,0,1] neg_lo:[0,0,1] neg_hi:[0,0,1]
	;; [unrolled: 6-line block ×4, first 2 shown]
	v_mov_b32_e32 v192, v190
	v_mov_b32_e32 v193, v189
	v_pk_add_f32 v[170:171], v[192:193], v[170:171]
	ds_write2_b64 v26, v[164:165], v[170:171] offset0:8 offset1:12
	v_pk_mul_f32 v[164:165], v[146:147], s[18:19] op_sel:[1,0] op_sel_hi:[0,0]
	v_pk_fma_f32 v[170:171], v[140:141], s[12:13], v[164:165] op_sel_hi:[1,0,1]
	v_pk_fma_f32 v[164:165], v[140:141], s[12:13], v[164:165] op_sel_hi:[1,0,1] neg_lo:[0,0,1] neg_hi:[0,0,1]
	v_pk_mul_f32 v[194:195], v[144:145], s[34:35] op_sel:[1,0] op_sel_hi:[0,0]
	v_mov_b32_e32 v192, v170
	v_mov_b32_e32 v193, v165
	v_pk_fma_f32 v[196:197], v[142:143], s[16:17], v[194:195] op_sel_hi:[1,0,1]
	v_pk_fma_f32 v[194:195], v[142:143], s[16:17], v[194:195] op_sel_hi:[1,0,1] neg_lo:[0,0,1] neg_hi:[0,0,1]
	v_pk_add_f32 v[192:193], v[192:193], v[24:25]
	v_mov_b32_e32 v198, v196
	v_mov_b32_e32 v199, v195
	v_pk_add_f32 v[192:193], v[198:199], v[192:193]
	v_pk_mul_f32 v[198:199], v[150:151], s[28:29] op_sel:[1,0] op_sel_hi:[0,0]
	v_pk_fma_f32 v[200:201], v[148:149], s[2:3], v[198:199] op_sel_hi:[1,0,1]
	v_pk_fma_f32 v[198:199], v[148:149], s[2:3], v[198:199] op_sel_hi:[1,0,1] neg_lo:[0,0,1] neg_hi:[0,0,1]
	v_mov_b32_e32 v202, v200
	v_mov_b32_e32 v203, v199
	v_pk_add_f32 v[192:193], v[202:203], v[192:193]
	v_pk_mul_f32 v[202:203], v[154:155], s[14:15] op_sel:[1,0] op_sel_hi:[0,0]
	v_pk_fma_f32 v[204:205], v[152:153], s[8:9], v[202:203] op_sel_hi:[1,0,1]
	v_pk_fma_f32 v[202:203], v[152:153], s[8:9], v[202:203] op_sel_hi:[1,0,1] neg_lo:[0,0,1] neg_hi:[0,0,1]
	;; [unrolled: 6-line block ×5, first 2 shown]
	v_pk_mul_f32 v[220:221], v[144:145], s[26:27] op_sel:[1,0] op_sel_hi:[0,0]
	v_mov_b32_e32 v218, v216
	v_mov_b32_e32 v219, v215
	v_pk_fma_f32 v[222:223], v[142:143], s[8:9], v[220:221] op_sel_hi:[1,0,1]
	v_pk_fma_f32 v[220:221], v[142:143], s[8:9], v[220:221] op_sel_hi:[1,0,1] neg_lo:[0,0,1] neg_hi:[0,0,1]
	v_pk_add_f32 v[218:219], v[218:219], v[24:25]
	v_mov_b32_e32 v224, v222
	v_mov_b32_e32 v225, v221
	v_pk_add_f32 v[218:219], v[224:225], v[218:219]
	v_pk_mul_f32 v[224:225], v[150:151], s[10:11] op_sel:[1,0] op_sel_hi:[0,0]
	v_pk_fma_f32 v[226:227], v[148:149], s[6:7], v[224:225] op_sel_hi:[1,0,1]
	v_pk_fma_f32 v[224:225], v[148:149], s[6:7], v[224:225] op_sel_hi:[1,0,1] neg_lo:[0,0,1] neg_hi:[0,0,1]
	v_mov_b32_e32 v228, v226
	v_mov_b32_e32 v229, v225
	v_pk_add_f32 v[218:219], v[228:229], v[218:219]
	v_pk_mul_f32 v[228:229], v[154:155], s[38:39] op_sel:[1,0] op_sel_hi:[0,0]
	v_pk_fma_f32 v[230:231], v[152:153], s[22:23], v[228:229] op_sel_hi:[1,0,1]
	v_pk_fma_f32 v[228:229], v[152:153], s[22:23], v[228:229] op_sel_hi:[1,0,1] neg_lo:[0,0,1] neg_hi:[0,0,1]
	;; [unrolled: 6-line block ×4, first 2 shown]
	v_mov_b32_e32 v240, v238
	v_mov_b32_e32 v241, v237
	v_pk_add_f32 v[218:219], v[240:241], v[218:219]
	v_pk_mul_f32 v[146:147], v[146:147], s[24:25] op_sel:[1,0] op_sel_hi:[0,0]
	ds_write2_b64 v26, v[192:193], v[218:219] offset0:16 offset1:20
	v_pk_fma_f32 v[192:193], v[140:141], s[22:23], v[146:147] op_sel_hi:[1,0,1]
	v_pk_fma_f32 v[140:141], v[140:141], s[22:23], v[146:147] op_sel_hi:[1,0,1] neg_lo:[0,0,1] neg_hi:[0,0,1]
	v_pk_mul_f32 v[144:145], v[144:145], s[28:29] op_sel:[1,0] op_sel_hi:[0,0]
	v_pk_fma_f32 v[146:147], v[142:143], s[2:3], v[144:145] op_sel_hi:[1,0,1]
	v_pk_fma_f32 v[142:143], v[142:143], s[2:3], v[144:145] op_sel_hi:[1,0,1] neg_lo:[0,0,1] neg_hi:[0,0,1]
	v_mov_b32_e32 v144, v192
	v_mov_b32_e32 v145, v141
	v_pk_add_f32 v[144:145], v[144:145], v[24:25]
	v_mov_b32_e32 v218, v146
	v_mov_b32_e32 v219, v143
	v_pk_mul_f32 v[150:151], v[150:151], s[20:21] op_sel:[1,0] op_sel_hi:[0,0]
	v_pk_add_f32 v[144:145], v[218:219], v[144:145]
	v_pk_fma_f32 v[218:219], v[148:149], s[16:17], v[150:151] op_sel_hi:[1,0,1]
	v_pk_fma_f32 v[148:149], v[148:149], s[16:17], v[150:151] op_sel_hi:[1,0,1] neg_lo:[0,0,1] neg_hi:[0,0,1]
	v_mov_b32_e32 v150, v218
	v_mov_b32_e32 v151, v149
	v_pk_add_f32 v[144:145], v[150:151], v[144:145]
	v_pk_mul_f32 v[150:151], v[154:155], s[36:37] op_sel:[1,0] op_sel_hi:[0,0]
	v_pk_fma_f32 v[154:155], v[152:153], s[6:7], v[150:151] op_sel_hi:[1,0,1]
	v_pk_fma_f32 v[150:151], v[152:153], s[6:7], v[150:151] op_sel_hi:[1,0,1] neg_lo:[0,0,1] neg_hi:[0,0,1]
	v_mov_b32_e32 v152, v154
	v_mov_b32_e32 v153, v151
	v_pk_add_f32 v[144:145], v[152:153], v[144:145]
	v_pk_mul_f32 v[152:153], v[158:159], s[18:19] op_sel:[1,0] op_sel_hi:[0,0]
	v_mov_b32_e32 v141, v193
	v_pk_fma_f32 v[158:159], v[156:157], s[12:13], v[152:153] op_sel_hi:[1,0,1]
	v_pk_fma_f32 v[152:153], v[156:157], s[12:13], v[152:153] op_sel_hi:[1,0,1] neg_lo:[0,0,1] neg_hi:[0,0,1]
	v_mov_b32_e32 v143, v147
	v_pk_add_f32 v[140:141], v[140:141], v[24:25]
	v_mov_b32_e32 v156, v158
	v_mov_b32_e32 v157, v153
	v_pk_add_f32 v[140:141], v[142:143], v[140:141]
	v_mov_b32_e32 v149, v219
	v_pk_add_f32 v[144:145], v[156:157], v[144:145]
	v_pk_mul_f32 v[156:157], v[162:163], s[26:27] op_sel:[1,0] op_sel_hi:[0,0]
	v_pk_add_f32 v[140:141], v[148:149], v[140:141]
	v_mov_b32_e32 v151, v155
	v_pk_fma_f32 v[162:163], v[160:161], s[8:9], v[156:157] op_sel_hi:[1,0,1]
	v_pk_fma_f32 v[156:157], v[160:161], s[8:9], v[156:157] op_sel_hi:[1,0,1] neg_lo:[0,0,1] neg_hi:[0,0,1]
	v_pk_add_f32 v[140:141], v[150:151], v[140:141]
	v_mov_b32_e32 v153, v159
	v_mov_b32_e32 v160, v162
	;; [unrolled: 1-line block ×3, first 2 shown]
	v_pk_add_f32 v[140:141], v[152:153], v[140:141]
	v_mov_b32_e32 v157, v163
	v_pk_add_f32 v[144:145], v[160:161], v[144:145]
	v_pk_add_f32 v[140:141], v[156:157], v[140:141]
	v_mov_b32_e32 v215, v217
	v_mov_b32_e32 v165, v171
	ds_write2_b64 v26, v[144:145], v[140:141] offset0:24 offset1:28
	v_mov_b32_e32 v221, v223
	v_pk_add_f32 v[140:141], v[214:215], v[24:25]
	v_mov_b32_e32 v195, v197
	v_pk_add_f32 v[142:143], v[164:165], v[24:25]
	v_pk_add_f32 v[140:141], v[220:221], v[140:141]
	v_mov_b32_e32 v225, v227
	v_pk_add_f32 v[142:143], v[194:195], v[142:143]
	v_mov_b32_e32 v199, v201
	;; [unrolled: 2-line block ×8, first 2 shown]
	v_pk_add_f32 v[140:141], v[236:237], v[140:141]
	v_pk_add_f32 v[142:143], v[210:211], v[142:143]
	v_mov_b32_e32 v167, v169
	v_mov_b32_e32 v109, v107
	;; [unrolled: 1-line block ×3, first 2 shown]
	ds_write2_b64 v26, v[140:141], v[142:143] offset0:32 offset1:36
	v_mov_b32_e32 v173, v175
	v_pk_add_f32 v[140:141], v[166:167], v[24:25]
	v_pk_add_f32 v[108:109], v[108:109], v[24:25]
	v_mov_b32_e32 v113, v111
	v_pk_add_f32 v[24:25], v[60:61], v[24:25]
	v_mov_b32_e32 v53, v27
	;; [unrolled: 2-line block ×14, first 2 shown]
	v_pk_add_f32 v[140:141], v[188:189], v[140:141]
	v_sub_u32_e32 v110, 0, v73
	v_sub_u32_e32 v54, 0, v97
	;; [unrolled: 1-line block ×10, first 2 shown]
	v_pk_add_f32 v[108:109], v[128:129], v[108:109]
	v_pk_add_f32 v[24:25], v[104:105], v[24:25]
	ds_write2_b64 v26, v[140:141], v[108:109] offset0:40 offset1:44
	ds_write_b64 v26, v[24:25] offset:384
	s_and_saveexec_b64 s[42:43], vcc
	s_cbranch_execz .LBB0_17
; %bb.16:
	v_mov_b32_e32 v26, v23
	v_mov_b32_e32 v56, v21
	;; [unrolled: 1-line block ×5, first 2 shown]
	v_pk_mul_f32 v[26:27], v[26:27], v[50:51] op_sel_hi:[0,1]
	v_pk_mul_f32 v[56:57], v[56:57], v[48:49] op_sel_hi:[0,1]
	;; [unrolled: 1-line block ×5, first 2 shown]
	v_mov_b32_e32 v112, v15
	v_mov_b32_e32 v108, v9
	v_pk_mul_f32 v[112:113], v[112:113], v[42:43] op_sel_hi:[0,1]
	v_pk_fma_f32 v[118:119], v[22:23], v[50:51], v[26:27] op_sel:[0,0,1] op_sel_hi:[1,1,0]
	v_pk_fma_f32 v[22:23], v[22:23], v[50:51], v[26:27] op_sel:[0,0,1] op_sel_hi:[0,1,0] neg_lo:[1,0,0] neg_hi:[1,0,0]
	v_pk_fma_f32 v[26:27], v[20:21], v[48:49], v[56:57] op_sel:[0,0,1] op_sel_hi:[1,1,0]
	v_pk_fma_f32 v[20:21], v[20:21], v[48:49], v[56:57] op_sel:[0,0,1] op_sel_hi:[0,1,0] neg_lo:[1,0,0] neg_hi:[1,0,0]
	;; [unrolled: 2-line block ×5, first 2 shown]
	v_pk_mul_f32 v[108:109], v[108:109], v[36:37] op_sel_hi:[0,1]
	v_mov_b32_e32 v116, v13
	v_mov_b32_e32 v45, v3
	v_pk_fma_f32 v[30:31], v[14:15], v[42:43], v[112:113] op_sel:[0,0,1] op_sel_hi:[1,1,0]
	v_pk_fma_f32 v[2:3], v[14:15], v[42:43], v[112:113] op_sel:[0,0,1] op_sel_hi:[0,1,0] neg_lo:[1,0,0] neg_hi:[1,0,0]
	v_mov_b32_e32 v114, v11
	v_pk_mul_f32 v[116:117], v[116:117], v[40:41] op_sel_hi:[0,1]
	v_mov_b32_e32 v31, v3
	v_pk_fma_f32 v[42:43], v[8:9], v[36:37], v[108:109] op_sel:[0,0,1] op_sel_hi:[1,1,0]
	v_pk_fma_f32 v[2:3], v[8:9], v[36:37], v[108:109] op_sel:[0,0,1] op_sel_hi:[0,1,0] neg_lo:[1,0,0] neg_hi:[1,0,0]
	v_mov_b32_e32 v24, v5
	v_pk_mul_f32 v[114:115], v[114:115], v[38:39] op_sel_hi:[0,1]
	v_mov_b32_e32 v43, v3
	v_pk_fma_f32 v[36:37], v[12:13], v[40:41], v[116:117] op_sel:[0,0,1] op_sel_hi:[1,1,0]
	v_pk_fma_f32 v[2:3], v[12:13], v[40:41], v[116:117] op_sel:[0,0,1] op_sel_hi:[0,1,0] neg_lo:[1,0,0] neg_hi:[1,0,0]
	v_pk_mul_f32 v[24:25], v[24:25], v[32:33] op_sel_hi:[0,1]
	v_mov_b32_e32 v37, v3
	v_pk_fma_f32 v[40:41], v[10:11], v[38:39], v[114:115] op_sel:[0,0,1] op_sel_hi:[1,1,0]
	v_pk_fma_f32 v[2:3], v[10:11], v[38:39], v[114:115] op_sel:[0,0,1] op_sel_hi:[0,1,0] neg_lo:[1,0,0] neg_hi:[1,0,0]
	v_mov_b32_e32 v52, v7
	v_mov_b32_e32 v60, v1
	v_lshrrev_b32_e32 v1, 2, v90
	v_mov_b32_e32 v41, v3
	v_pk_fma_f32 v[2:3], v[4:5], v[32:33], v[24:25] op_sel:[0,0,1] op_sel_hi:[1,1,0]
	v_pk_fma_f32 v[4:5], v[4:5], v[32:33], v[24:25] op_sel:[0,0,1] op_sel_hi:[0,1,0] neg_lo:[1,0,0] neg_hi:[1,0,0]
	v_pk_mul_f32 v[52:53], v[52:53], v[34:35] op_sel_hi:[0,1]
	v_mul_lo_u32 v1, v1, 52
	v_mov_b32_e32 v119, v23
	v_mov_b32_e32 v3, v5
	v_pk_mul_f32 v[60:61], v[60:61], v[28:29] op_sel_hi:[0,1]
	v_or_b32_e32 v1, v1, v139
	v_pk_fma_f32 v[24:25], v[6:7], v[34:35], v[52:53] op_sel:[0,0,1] op_sel_hi:[1,1,0]
	v_pk_fma_f32 v[4:5], v[6:7], v[34:35], v[52:53] op_sel:[0,0,1] op_sel_hi:[0,1,0] neg_lo:[1,0,0] neg_hi:[1,0,0]
	v_pk_add_f32 v[34:35], v[2:3], v[118:119] neg_lo:[0,1] neg_hi:[0,1]
	v_lshl_add_u32 v55, v1, 3, 0
	v_mov_b32_e32 v27, v21
	v_mov_b32_e32 v25, v5
	v_pk_fma_f32 v[32:33], v[0:1], v[28:29], v[60:61] op_sel:[0,0,1] op_sel_hi:[1,1,0]
	v_pk_fma_f32 v[0:1], v[0:1], v[28:29], v[60:61] op_sel:[0,0,1] op_sel_hi:[0,1,0] neg_lo:[1,0,0] neg_hi:[1,0,0]
	v_pk_add_f32 v[28:29], v[102:103], v[2:3]
	v_pk_add_f32 v[38:39], v[2:3], v[118:119]
	v_pk_mul_f32 v[2:3], v[34:35], s[30:31] op_sel_hi:[1,0]
	v_mov_b32_e32 v33, v1
	v_pk_add_f32 v[50:51], v[24:25], v[26:27] neg_lo:[0,1] neg_hi:[0,1]
	v_pk_fma_f32 v[0:1], v[38:39], s[2:3], v[2:3] op_sel:[0,0,1] op_sel_hi:[1,0,0]
	v_pk_fma_f32 v[2:3], v[38:39], s[2:3], v[2:3] op_sel:[0,0,1] op_sel_hi:[1,0,0] neg_lo:[0,0,1] neg_hi:[0,0,1]
	v_pk_add_f32 v[52:53], v[24:25], v[26:27]
	v_mov_b32_e32 v4, v0
	v_mov_b32_e32 v5, v3
	v_pk_mul_f32 v[6:7], v[50:51], s[10:11] op_sel_hi:[1,0]
	v_mov_b32_e32 v49, v19
	v_pk_add_f32 v[8:9], v[102:103], v[4:5]
	v_pk_fma_f32 v[4:5], v[52:53], s[6:7], v[6:7] op_sel:[0,0,1] op_sel_hi:[1,0,0]
	v_pk_fma_f32 v[6:7], v[52:53], s[6:7], v[6:7] op_sel:[0,0,1] op_sel_hi:[1,0,0] neg_lo:[0,0,1] neg_hi:[0,0,1]
	v_pk_add_f32 v[56:57], v[32:33], v[48:49] neg_lo:[0,1] neg_hi:[0,1]
	v_mov_b32_e32 v10, v4
	v_mov_b32_e32 v11, v7
	v_pk_add_f32 v[60:61], v[32:33], v[48:49]
	v_pk_add_f32 v[12:13], v[10:11], v[8:9]
	v_pk_mul_f32 v[10:11], v[56:57], s[14:15] op_sel_hi:[1,0]
	v_mov_b32_e32 v47, v17
	v_pk_fma_f32 v[8:9], v[60:61], s[8:9], v[10:11] op_sel:[0,0,1] op_sel_hi:[1,0,0]
	v_pk_fma_f32 v[10:11], v[60:61], s[8:9], v[10:11] op_sel:[0,0,1] op_sel_hi:[1,0,0] neg_lo:[0,0,1] neg_hi:[0,0,1]
	v_pk_add_f32 v[64:65], v[44:45], v[46:47] neg_lo:[0,1] neg_hi:[0,1]
	v_mov_b32_e32 v14, v8
	v_mov_b32_e32 v15, v11
	v_pk_add_f32 v[24:25], v[28:29], v[24:25]
	v_pk_add_f32 v[68:69], v[44:45], v[46:47]
	v_pk_add_f32 v[16:17], v[14:15], v[12:13]
	v_pk_mul_f32 v[14:15], v[64:65], s[18:19] op_sel_hi:[1,0]
	v_pk_add_f32 v[24:25], v[24:25], v[32:33]
	v_pk_fma_f32 v[12:13], v[68:69], s[12:13], v[14:15] op_sel:[0,0,1] op_sel_hi:[1,0,0]
	v_pk_fma_f32 v[14:15], v[68:69], s[12:13], v[14:15] op_sel:[0,0,1] op_sel_hi:[1,0,0] neg_lo:[0,0,1] neg_hi:[0,0,1]
	v_pk_add_f32 v[24:25], v[24:25], v[44:45]
	v_pk_add_f32 v[104:105], v[42:43], v[30:31] neg_lo:[0,1] neg_hi:[0,1]
	v_mov_b32_e32 v18, v12
	v_mov_b32_e32 v19, v15
	v_pk_add_f32 v[24:25], v[24:25], v[42:43]
	v_pk_add_f32 v[108:109], v[42:43], v[30:31]
	v_pk_add_f32 v[20:21], v[18:19], v[16:17]
	v_pk_mul_f32 v[18:19], v[104:105], s[20:21] op_sel_hi:[1,0]
	v_pk_add_f32 v[24:25], v[24:25], v[40:41]
	v_pk_fma_f32 v[16:17], v[108:109], s[16:17], v[18:19] op_sel:[0,0,1] op_sel_hi:[1,0,0]
	v_pk_fma_f32 v[18:19], v[108:109], s[16:17], v[18:19] op_sel:[0,0,1] op_sel_hi:[1,0,0] neg_lo:[0,0,1] neg_hi:[0,0,1]
	v_pk_add_f32 v[24:25], v[24:25], v[36:37]
	;; [unrolled: 11-line block ×3, first 2 shown]
	v_mov_b32_e32 v120, v20
	v_mov_b32_e32 v121, v23
	v_pk_add_f32 v[24:25], v[24:25], v[26:27]
	v_pk_add_f32 v[116:117], v[120:121], v[116:117]
	;; [unrolled: 1-line block ×3, first 2 shown]
	v_pk_mul_f32 v[26:27], v[34:35], s[10:11] op_sel_hi:[1,0]
	ds_write2_b64 v55, v[24:25], v[116:117] offset1:4
	v_pk_fma_f32 v[24:25], v[38:39], s[6:7], v[26:27] op_sel:[0,0,1] op_sel_hi:[1,0,0]
	v_pk_fma_f32 v[26:27], v[38:39], s[6:7], v[26:27] op_sel:[0,0,1] op_sel_hi:[1,0,0] neg_lo:[0,0,1] neg_hi:[0,0,1]
	v_mov_b32_e32 v28, v24
	v_mov_b32_e32 v29, v27
	v_pk_mul_f32 v[30:31], v[50:51], s[18:19] op_sel_hi:[1,0]
	v_pk_add_f32 v[32:33], v[102:103], v[28:29]
	v_pk_fma_f32 v[28:29], v[52:53], s[12:13], v[30:31] op_sel:[0,0,1] op_sel_hi:[1,0,0]
	v_pk_fma_f32 v[30:31], v[52:53], s[12:13], v[30:31] op_sel:[0,0,1] op_sel_hi:[1,0,0] neg_lo:[0,0,1] neg_hi:[0,0,1]
	v_mov_b32_e32 v36, v28
	v_mov_b32_e32 v37, v31
	v_pk_add_f32 v[32:33], v[36:37], v[32:33]
	v_pk_mul_f32 v[36:37], v[56:57], s[24:25] op_sel_hi:[1,0]
	v_pk_mul_f32 v[126:127], v[50:51], s[24:25] op_sel_hi:[1,0]
	v_pk_fma_f32 v[40:41], v[60:61], s[22:23], v[36:37] op_sel:[0,0,1] op_sel_hi:[1,0,0]
	v_pk_fma_f32 v[36:37], v[60:61], s[22:23], v[36:37] op_sel:[0,0,1] op_sel_hi:[1,0,0] neg_lo:[0,0,1] neg_hi:[0,0,1]
	v_mov_b32_e32 v42, v40
	v_mov_b32_e32 v43, v37
	v_pk_add_f32 v[32:33], v[42:43], v[32:33]
	v_pk_mul_f32 v[42:43], v[64:65], s[34:35] op_sel_hi:[1,0]
	v_pk_fma_f32 v[128:129], v[52:53], s[22:23], v[126:127] op_sel:[0,0,1] op_sel_hi:[1,0,0]
	v_pk_fma_f32 v[44:45], v[68:69], s[16:17], v[42:43] op_sel:[0,0,1] op_sel_hi:[1,0,0]
	v_pk_fma_f32 v[42:43], v[68:69], s[16:17], v[42:43] op_sel:[0,0,1] op_sel_hi:[1,0,0] neg_lo:[0,0,1] neg_hi:[0,0,1]
	v_mov_b32_e32 v46, v44
	v_mov_b32_e32 v47, v43
	v_pk_add_f32 v[32:33], v[46:47], v[32:33]
	v_pk_mul_f32 v[46:47], v[104:105], s[26:27] op_sel_hi:[1,0]
	v_pk_fma_f32 v[126:127], v[52:53], s[22:23], v[126:127] op_sel:[0,0,1] op_sel_hi:[1,0,0] neg_lo:[0,0,1] neg_hi:[0,0,1]
	v_pk_fma_f32 v[48:49], v[108:109], s[8:9], v[46:47] op_sel:[0,0,1] op_sel_hi:[1,0,0]
	v_pk_fma_f32 v[46:47], v[108:109], s[8:9], v[46:47] op_sel:[0,0,1] op_sel_hi:[1,0,0] neg_lo:[0,0,1] neg_hi:[0,0,1]
	v_mov_b32_e32 v116, v48
	v_mov_b32_e32 v117, v47
	v_pk_add_f32 v[32:33], v[116:117], v[32:33]
	v_pk_mul_f32 v[116:117], v[112:113], s[28:29] op_sel_hi:[1,0]
	v_mov_b32_e32 v134, v128
	v_pk_fma_f32 v[118:119], v[114:115], s[2:3], v[116:117] op_sel:[0,0,1] op_sel_hi:[1,0,0]
	v_pk_fma_f32 v[116:117], v[114:115], s[2:3], v[116:117] op_sel:[0,0,1] op_sel_hi:[1,0,0] neg_lo:[0,0,1] neg_hi:[0,0,1]
	v_mov_b32_e32 v120, v118
	v_mov_b32_e32 v121, v117
	v_pk_add_f32 v[32:33], v[120:121], v[32:33]
	v_pk_mul_f32 v[120:121], v[34:35], s[14:15] op_sel_hi:[1,0]
	v_mov_b32_e32 v135, v127
	v_pk_fma_f32 v[122:123], v[38:39], s[8:9], v[120:121] op_sel:[0,0,1] op_sel_hi:[1,0,0]
	v_pk_fma_f32 v[120:121], v[38:39], s[8:9], v[120:121] op_sel:[0,0,1] op_sel_hi:[1,0,0] neg_lo:[0,0,1] neg_hi:[0,0,1]
	v_mov_b32_e32 v124, v122
	v_mov_b32_e32 v125, v121
	v_pk_add_f32 v[124:125], v[102:103], v[124:125]
	v_pk_mul_f32 v[152:153], v[64:65], s[14:15] op_sel_hi:[1,0]
	v_pk_add_f32 v[124:125], v[134:135], v[124:125]
	v_pk_mul_f32 v[134:135], v[56:57], s[40:41] op_sel_hi:[1,0]
	v_pk_mul_f32 v[154:155], v[104:105], s[38:39] op_sel_hi:[1,0]
	v_pk_fma_f32 v[136:137], v[60:61], s[12:13], v[134:135] op_sel:[0,0,1] op_sel_hi:[1,0,0]
	v_pk_fma_f32 v[134:135], v[60:61], s[12:13], v[134:135] op_sel:[0,0,1] op_sel_hi:[1,0,0] neg_lo:[0,0,1] neg_hi:[0,0,1]
	v_mov_b32_e32 v138, v136
	v_mov_b32_e32 v139, v135
	v_pk_add_f32 v[124:125], v[138:139], v[124:125]
	v_pk_mul_f32 v[138:139], v[64:65], s[28:29] op_sel_hi:[1,0]
	v_pk_mul_f32 v[156:157], v[112:113], s[36:37] op_sel_hi:[1,0]
	v_pk_fma_f32 v[140:141], v[68:69], s[2:3], v[138:139] op_sel:[0,0,1] op_sel_hi:[1,0,0]
	v_pk_fma_f32 v[138:139], v[68:69], s[2:3], v[138:139] op_sel:[0,0,1] op_sel_hi:[1,0,0] neg_lo:[0,0,1] neg_hi:[0,0,1]
	v_mov_b32_e32 v142, v140
	v_mov_b32_e32 v143, v139
	;; [unrolled: 7-line block ×3, first 2 shown]
	v_pk_add_f32 v[124:125], v[146:147], v[124:125]
	v_pk_mul_f32 v[146:147], v[112:113], s[20:21] op_sel_hi:[1,0]
	v_pk_fma_f32 v[180:181], v[52:53], s[8:9], v[178:179] op_sel:[0,0,1] op_sel_hi:[1,0,0]
	v_pk_fma_f32 v[148:149], v[114:115], s[16:17], v[146:147] op_sel:[0,0,1] op_sel_hi:[1,0,0]
	v_pk_fma_f32 v[146:147], v[114:115], s[16:17], v[146:147] op_sel:[0,0,1] op_sel_hi:[1,0,0] neg_lo:[0,0,1] neg_hi:[0,0,1]
	v_mov_b32_e32 v150, v148
	v_mov_b32_e32 v151, v147
	v_pk_add_f32 v[124:125], v[150:151], v[124:125]
	ds_write2_b64 v55, v[32:33], v[124:125] offset0:8 offset1:12
	v_pk_mul_f32 v[32:33], v[34:35], s[18:19] op_sel_hi:[1,0]
	v_pk_mul_f32 v[124:125], v[50:51], s[34:35] op_sel_hi:[1,0]
	v_pk_fma_f32 v[158:159], v[38:39], s[12:13], v[32:33] op_sel:[0,0,1] op_sel_hi:[1,0,0]
	v_pk_fma_f32 v[32:33], v[38:39], s[12:13], v[32:33] op_sel:[0,0,1] op_sel_hi:[1,0,0] neg_lo:[0,0,1] neg_hi:[0,0,1]
	v_mov_b32_e32 v160, v158
	v_mov_b32_e32 v161, v33
	v_pk_fma_f32 v[162:163], v[52:53], s[16:17], v[124:125] op_sel:[0,0,1] op_sel_hi:[1,0,0]
	v_pk_fma_f32 v[124:125], v[52:53], s[16:17], v[124:125] op_sel:[0,0,1] op_sel_hi:[1,0,0] neg_lo:[0,0,1] neg_hi:[0,0,1]
	v_pk_mul_f32 v[150:151], v[56:57], s[28:29] op_sel_hi:[1,0]
	v_pk_add_f32 v[160:161], v[102:103], v[160:161]
	v_mov_b32_e32 v164, v162
	v_mov_b32_e32 v165, v125
	v_pk_add_f32 v[160:161], v[164:165], v[160:161]
	v_pk_fma_f32 v[164:165], v[60:61], s[2:3], v[150:151] op_sel:[0,0,1] op_sel_hi:[1,0,0]
	v_pk_fma_f32 v[150:151], v[60:61], s[2:3], v[150:151] op_sel:[0,0,1] op_sel_hi:[1,0,0] neg_lo:[0,0,1] neg_hi:[0,0,1]
	v_mov_b32_e32 v166, v164
	v_mov_b32_e32 v167, v151
	v_pk_add_f32 v[160:161], v[166:167], v[160:161]
	v_pk_fma_f32 v[166:167], v[68:69], s[8:9], v[152:153] op_sel:[0,0,1] op_sel_hi:[1,0,0]
	v_pk_fma_f32 v[152:153], v[68:69], s[8:9], v[152:153] op_sel:[0,0,1] op_sel_hi:[1,0,0] neg_lo:[0,0,1] neg_hi:[0,0,1]
	;; [unrolled: 5-line block ×4, first 2 shown]
	v_mov_b32_e32 v172, v170
	v_mov_b32_e32 v173, v157
	v_pk_add_f32 v[160:161], v[172:173], v[160:161]
	v_pk_mul_f32 v[172:173], v[34:35], s[20:21] op_sel_hi:[1,0]
	v_pk_fma_f32 v[178:179], v[52:53], s[8:9], v[178:179] op_sel:[0,0,1] op_sel_hi:[1,0,0] neg_lo:[0,0,1] neg_hi:[0,0,1]
	v_pk_fma_f32 v[174:175], v[38:39], s[16:17], v[172:173] op_sel:[0,0,1] op_sel_hi:[1,0,0]
	v_pk_fma_f32 v[172:173], v[38:39], s[16:17], v[172:173] op_sel:[0,0,1] op_sel_hi:[1,0,0] neg_lo:[0,0,1] neg_hi:[0,0,1]
	v_mov_b32_e32 v176, v174
	v_mov_b32_e32 v177, v173
	v_pk_add_f32 v[176:177], v[102:103], v[176:177]
	v_mov_b32_e32 v182, v180
	v_mov_b32_e32 v183, v179
	v_pk_add_f32 v[176:177], v[182:183], v[176:177]
	v_pk_mul_f32 v[182:183], v[56:57], s[10:11] op_sel_hi:[1,0]
	v_pk_mul_f32 v[34:35], v[34:35], s[24:25] op_sel_hi:[1,0]
	v_pk_fma_f32 v[184:185], v[60:61], s[6:7], v[182:183] op_sel:[0,0,1] op_sel_hi:[1,0,0]
	v_pk_fma_f32 v[182:183], v[60:61], s[6:7], v[182:183] op_sel:[0,0,1] op_sel_hi:[1,0,0] neg_lo:[0,0,1] neg_hi:[0,0,1]
	v_mov_b32_e32 v186, v184
	v_mov_b32_e32 v187, v183
	v_pk_add_f32 v[176:177], v[186:187], v[176:177]
	v_pk_mul_f32 v[186:187], v[64:65], s[38:39] op_sel_hi:[1,0]
	v_pk_mul_f32 v[50:51], v[50:51], s[28:29] op_sel_hi:[1,0]
	v_pk_fma_f32 v[188:189], v[68:69], s[22:23], v[186:187] op_sel:[0,0,1] op_sel_hi:[1,0,0]
	v_pk_fma_f32 v[186:187], v[68:69], s[22:23], v[186:187] op_sel:[0,0,1] op_sel_hi:[1,0,0] neg_lo:[0,0,1] neg_hi:[0,0,1]
	;; [unrolled: 7-line block ×4, first 2 shown]
	v_mov_b32_e32 v198, v196
	v_mov_b32_e32 v199, v195
	v_pk_add_f32 v[176:177], v[198:199], v[176:177]
	ds_write2_b64 v55, v[160:161], v[176:177] offset0:16 offset1:20
	v_pk_fma_f32 v[160:161], v[38:39], s[22:23], v[34:35] op_sel:[0,0,1] op_sel_hi:[1,0,0]
	v_pk_fma_f32 v[34:35], v[38:39], s[22:23], v[34:35] op_sel:[0,0,1] op_sel_hi:[1,0,0] neg_lo:[0,0,1] neg_hi:[0,0,1]
	v_mov_b32_e32 v38, v160
	v_mov_b32_e32 v39, v35
	v_pk_fma_f32 v[176:177], v[52:53], s[2:3], v[50:51] op_sel:[0,0,1] op_sel_hi:[1,0,0]
	v_pk_fma_f32 v[50:51], v[52:53], s[2:3], v[50:51] op_sel:[0,0,1] op_sel_hi:[1,0,0] neg_lo:[0,0,1] neg_hi:[0,0,1]
	v_pk_add_f32 v[38:39], v[102:103], v[38:39]
	v_mov_b32_e32 v52, v176
	v_mov_b32_e32 v53, v51
	v_pk_add_f32 v[38:39], v[52:53], v[38:39]
	v_pk_fma_f32 v[52:53], v[60:61], s[16:17], v[56:57] op_sel:[0,0,1] op_sel_hi:[1,0,0]
	v_pk_fma_f32 v[56:57], v[60:61], s[16:17], v[56:57] op_sel:[0,0,1] op_sel_hi:[1,0,0] neg_lo:[0,0,1] neg_hi:[0,0,1]
	v_mov_b32_e32 v60, v52
	v_mov_b32_e32 v61, v57
	v_pk_add_f32 v[38:39], v[60:61], v[38:39]
	v_pk_fma_f32 v[60:61], v[68:69], s[6:7], v[64:65] op_sel:[0,0,1] op_sel_hi:[1,0,0]
	v_pk_fma_f32 v[64:65], v[68:69], s[6:7], v[64:65] op_sel:[0,0,1] op_sel_hi:[1,0,0] neg_lo:[0,0,1] neg_hi:[0,0,1]
	v_mov_b32_e32 v35, v161
	v_pk_mul_f32 v[104:105], v[104:105], s[18:19] op_sel_hi:[1,0]
	v_mov_b32_e32 v68, v60
	v_mov_b32_e32 v69, v65
	v_pk_add_f32 v[34:35], v[102:103], v[34:35]
	v_mov_b32_e32 v51, v177
	v_pk_add_f32 v[38:39], v[68:69], v[38:39]
	v_pk_fma_f32 v[68:69], v[108:109], s[12:13], v[104:105] op_sel:[0,0,1] op_sel_hi:[1,0,0]
	v_pk_fma_f32 v[104:105], v[108:109], s[12:13], v[104:105] op_sel:[0,0,1] op_sel_hi:[1,0,0] neg_lo:[0,0,1] neg_hi:[0,0,1]
	v_pk_add_f32 v[34:35], v[50:51], v[34:35]
	v_mov_b32_e32 v57, v53
	v_pk_mul_f32 v[112:113], v[112:113], s[26:27] op_sel_hi:[1,0]
	v_mov_b32_e32 v108, v68
	v_mov_b32_e32 v109, v105
	v_pk_add_f32 v[34:35], v[56:57], v[34:35]
	v_mov_b32_e32 v65, v61
	v_pk_add_f32 v[38:39], v[108:109], v[38:39]
	v_pk_fma_f32 v[108:109], v[114:115], s[8:9], v[112:113] op_sel:[0,0,1] op_sel_hi:[1,0,0]
	v_pk_fma_f32 v[112:113], v[114:115], s[8:9], v[112:113] op_sel:[0,0,1] op_sel_hi:[1,0,0] neg_lo:[0,0,1] neg_hi:[0,0,1]
	v_pk_add_f32 v[34:35], v[64:65], v[34:35]
	v_mov_b32_e32 v105, v69
	v_mov_b32_e32 v114, v108
	;; [unrolled: 1-line block ×3, first 2 shown]
	v_pk_add_f32 v[34:35], v[104:105], v[34:35]
	v_mov_b32_e32 v113, v109
	v_pk_add_f32 v[38:39], v[114:115], v[38:39]
	v_pk_add_f32 v[34:35], v[112:113], v[34:35]
	v_mov_b32_e32 v173, v175
	v_mov_b32_e32 v33, v159
	ds_write2_b64 v55, v[38:39], v[34:35] offset0:24 offset1:28
	v_pk_add_f32 v[34:35], v[102:103], v[172:173]
	v_mov_b32_e32 v179, v181
	v_pk_add_f32 v[32:33], v[102:103], v[32:33]
	v_mov_b32_e32 v125, v163
	;; [unrolled: 2-line block ×10, first 2 shown]
	v_pk_add_f32 v[34:35], v[194:195], v[34:35]
	v_pk_add_f32 v[32:33], v[156:157], v[32:33]
	v_mov_b32_e32 v121, v123
	v_mov_b32_e32 v27, v25
	;; [unrolled: 1-line block ×3, first 2 shown]
	ds_write2_b64 v55, v[34:35], v[32:33] offset0:32 offset1:36
	v_pk_add_f32 v[32:33], v[102:103], v[120:121]
	v_mov_b32_e32 v127, v129
	v_pk_add_f32 v[24:25], v[102:103], v[26:27]
	v_mov_b32_e32 v31, v29
	;; [unrolled: 2-line block ×15, first 2 shown]
	v_pk_add_f32 v[32:33], v[146:147], v[32:33]
	v_pk_add_f32 v[24:25], v[116:117], v[24:25]
	;; [unrolled: 1-line block ×3, first 2 shown]
	ds_write2_b64 v55, v[32:33], v[24:25] offset0:40 offset1:44
	ds_write_b64 v55, v[0:1] offset:384
.LBB0_17:
	s_or_b64 exec, exec, s[42:43]
	s_movk_i32 s2, 0x4ec5
	v_mul_u32_u24_sdwa v104, v92, s2 dst_sel:DWORD dst_unused:UNUSED_PAD src0_sel:WORD_0 src1_sel:DWORD
	v_lshrrev_b32_e32 v0, 20, v104
	v_mul_lo_u16_e32 v0, 52, v0
	v_sub_u16_e32 v0, v92, v0
	v_mul_u32_u24_sdwa v105, v88, s2 dst_sel:DWORD dst_unused:UNUSED_PAD src0_sel:WORD_0 src1_sel:DWORD
	v_lshlrev_b32_e32 v56, 3, v0
	v_lshrrev_b32_e32 v0, 20, v105
	v_mul_lo_u16_e32 v0, 52, v0
	v_mov_b32_e32 v73, 0
	v_sub_u16_e32 v0, v88, v0
	s_waitcnt lgkmcnt(0)
	; wave barrier
	s_waitcnt lgkmcnt(0)
	v_lshl_add_u64 v[12:13], v[72:73], 3, s[4:5]
	v_lshlrev_b32_e32 v57, 3, v0
	global_load_dwordx2 v[0:1], v56, s[4:5] offset:400
	global_load_dwordx2 v[2:3], v57, s[4:5] offset:400
	global_load_dwordx2 v[26:27], v[12:13], off offset:400
	s_movk_i32 s3, 0x4f
	v_mul_lo_u16_sdwa v4, v94, s3 dst_sel:DWORD dst_unused:UNUSED_PAD src0_sel:BYTE_0 src1_sel:DWORD
	v_lshrrev_b16_e32 v4, 12, v4
	v_mul_lo_u16_e32 v4, 52, v4
	v_mov_b32_e32 v59, 3
	v_mul_u32_u24_sdwa v5, v76, s2 dst_sel:DWORD dst_unused:UNUSED_PAD src0_sel:WORD_0 src1_sel:DWORD
	v_sub_u16_e32 v4, v94, v4
	v_lshrrev_b32_e32 v5, 20, v5
	v_lshlrev_b32_sdwa v60, v59, v4 dst_sel:DWORD dst_unused:UNUSED_PAD src0_sel:DWORD src1_sel:BYTE_0
	v_mul_u32_u24_sdwa v4, v78, s2 dst_sel:DWORD dst_unused:UNUSED_PAD src0_sel:WORD_0 src1_sel:DWORD
	v_mul_lo_u16_e32 v5, 52, v5
	v_lshrrev_b32_e32 v4, 20, v4
	v_sub_u16_e32 v5, v76, v5
	v_mul_lo_u16_e32 v4, 52, v4
	v_lshlrev_b32_e32 v61, 3, v5
	v_sub_u16_e32 v4, v78, v4
	global_load_dwordx2 v[28:29], v61, s[4:5] offset:400
	global_load_dwordx2 v[32:33], v60, s[4:5] offset:400
	v_lshlrev_b32_e32 v63, 3, v4
	global_load_dwordx2 v[30:31], v63, s[4:5] offset:400
	v_mul_u32_u24_sdwa v5, v80, s2 dst_sel:DWORD dst_unused:UNUSED_PAD src0_sel:WORD_0 src1_sel:DWORD
	v_lshrrev_b32_e32 v5, 20, v5
	v_mul_lo_u16_e32 v5, 52, v5
	v_sub_u16_e32 v5, v80, v5
	v_mul_u32_u24_sdwa v4, v82, s2 dst_sel:DWORD dst_unused:UNUSED_PAD src0_sel:WORD_0 src1_sel:DWORD
	v_lshlrev_b32_e32 v64, 3, v5
	global_load_dwordx2 v[34:35], v64, s[4:5] offset:400
	v_lshrrev_b32_e32 v4, 20, v4
	v_mul_lo_u16_e32 v4, 52, v4
	v_sub_u16_e32 v4, v82, v4
	v_lshlrev_b32_e32 v65, 3, v4
	global_load_dwordx2 v[36:37], v65, s[4:5] offset:400
	v_mul_u32_u24_sdwa v107, v86, s2 dst_sel:DWORD dst_unused:UNUSED_PAD src0_sel:WORD_0 src1_sel:DWORD
	v_mul_u32_u24_sdwa v108, v84, s2 dst_sel:DWORD dst_unused:UNUSED_PAD src0_sel:WORD_0 src1_sel:DWORD
	v_lshrrev_b32_e32 v4, 20, v107
	v_lshrrev_b32_e32 v5, 20, v108
	v_mul_lo_u16_e32 v4, 52, v4
	v_mul_lo_u16_e32 v5, 52, v5
	v_sub_u16_e32 v4, v86, v4
	v_sub_u16_e32 v5, v84, v5
	v_lshlrev_b32_e32 v67, 3, v4
	v_lshlrev_b32_e32 v68, 3, v5
	global_load_dwordx2 v[38:39], v67, s[4:5] offset:400
	global_load_dwordx2 v[40:41], v68, s[4:5] offset:400
	v_add_u32_e32 v24, 0x1000, v130
	v_add_u32_e32 v25, 0x1400, v130
	ds_read2_b64 v[4:7], v24 offset0:112 offset1:164
	ds_read2_b64 v[8:11], v25 offset0:88 offset1:140
	v_mul_lo_u16_sdwa v50, v96, s3 dst_sel:DWORD dst_unused:UNUSED_PAD src0_sel:BYTE_0 src1_sel:DWORD
	v_lshrrev_b16_e32 v50, 12, v50
	v_add_u32_e32 v22, v79, v54
	v_mul_lo_u16_e32 v50, 52, v50
	v_add_u32_e32 v23, v77, v110
	v_add_u32_e32 v21, v81, v58
	ds_read_b64 v[42:43], v22
	ds_read_b64 v[44:45], v23
	;; [unrolled: 1-line block ×4, first 2 shown]
	v_sub_u16_e32 v58, v96, v50
	v_add_u32_e32 v14, v95, v106
	v_add_u32_e32 v20, v83, v62
	;; [unrolled: 1-line block ×16, first 2 shown]
	v_mov_b32_e32 v101, v73
	v_mov_b32_e32 v99, v73
	s_mov_b32 s2, 0x3f5db3d7
	v_mov_b32_e32 v97, v73
	s_waitcnt vmcnt(7) lgkmcnt(5)
	v_pk_mul_f32 v[50:51], v[26:27], v[6:7] op_sel:[0,1]
	v_pk_mul_f32 v[52:53], v[26:27], v[4:5] op_sel:[0,1]
	v_pk_fma_f32 v[54:55], v[26:27], v[6:7], v[50:51] op_sel:[0,0,1] op_sel_hi:[1,1,0]
	v_pk_fma_f32 v[6:7], v[26:27], v[6:7], v[50:51] op_sel:[0,0,1] op_sel_hi:[1,0,0] neg_lo:[1,0,0] neg_hi:[1,0,0]
	s_nop 0
	v_mov_b32_e32 v55, v7
	v_pk_fma_f32 v[6:7], v[26:27], v[4:5], v[52:53] op_sel:[0,0,1] op_sel_hi:[1,1,0]
	v_pk_fma_f32 v[4:5], v[26:27], v[4:5], v[52:53] op_sel:[0,0,1] op_sel_hi:[1,0,0] neg_lo:[1,0,0] neg_hi:[1,0,0]
	s_waitcnt lgkmcnt(1)
	v_pk_add_f32 v[50:51], v[46:47], v[54:55] neg_lo:[0,1] neg_hi:[0,1]
	v_lshlrev_b32_sdwa v4, v59, v58 dst_sel:DWORD dst_unused:UNUSED_PAD src0_sel:DWORD src1_sel:BYTE_0
	global_load_dwordx2 v[54:55], v4, s[4:5] offset:400
	v_mov_b32_e32 v7, v5
	v_add_u32_e32 v26, 0x2000, v130
	s_waitcnt lgkmcnt(0)
	v_pk_add_f32 v[52:53], v[48:49], v[6:7] neg_lo:[0,1] neg_hi:[0,1]
	v_add_u32_e32 v77, 0, v4
	ds_read2_b64 v[4:7], v26 offset0:120 offset1:172
	ds_read_b64 v[58:59], v14
	v_add_u32_e32 v27, 0x1800, v130
	v_pk_fma_f32 v[48:49], v[48:49], 2.0, v[52:53] op_sel_hi:[1,0,1] neg_lo:[0,0,1] neg_hi:[0,0,1]
	v_pk_fma_f32 v[46:47], v[46:47], 2.0, v[50:51] op_sel_hi:[1,0,1] neg_lo:[0,0,1] neg_hi:[0,0,1]
	s_waitcnt vmcnt(7) lgkmcnt(1)
	v_pk_mul_f32 v[56:57], v[6:7], v[28:29] op_sel:[0,1]
	s_nop 0
	v_pk_fma_f32 v[60:61], v[6:7], v[28:29], v[56:57] op_sel:[0,0,1] op_sel_hi:[1,1,0]
	v_pk_fma_f32 v[6:7], v[6:7], v[28:29], v[56:57] op_sel:[0,0,1] op_sel_hi:[1,0,0] neg_lo:[0,0,1] neg_hi:[0,0,1]
	ds_read_b64 v[28:29], v15
	v_mov_b32_e32 v61, v7
	s_waitcnt vmcnt(5)
	v_pk_mul_f32 v[6:7], v[4:5], v[30:31] op_sel:[0,1]
	s_waitcnt lgkmcnt(1)
	v_pk_add_f32 v[56:57], v[58:59], v[60:61] neg_lo:[0,1] neg_hi:[0,1]
	v_pk_fma_f32 v[60:61], v[4:5], v[30:31], v[6:7] op_sel:[0,0,1] op_sel_hi:[1,1,0]
	v_pk_fma_f32 v[30:31], v[4:5], v[30:31], v[6:7] op_sel:[0,0,1] op_sel_hi:[1,0,0] neg_lo:[0,0,1] neg_hi:[0,0,1]
	ds_read2_b64 v[4:7], v26 offset0:16 offset1:68
	v_mov_b32_e32 v61, v31
	ds_read_b64 v[30:31], v16
	s_waitcnt lgkmcnt(2)
	v_pk_add_f32 v[60:61], v[28:29], v[60:61] neg_lo:[0,1] neg_hi:[0,1]
	v_pk_fma_f32 v[58:59], v[58:59], 2.0, v[56:57] op_sel_hi:[1,0,1] neg_lo:[0,0,1] neg_hi:[0,0,1]
	v_pk_fma_f32 v[62:63], v[28:29], 2.0, v[60:61] op_sel_hi:[1,0,1] neg_lo:[0,0,1] neg_hi:[0,0,1]
	s_waitcnt vmcnt(4) lgkmcnt(1)
	v_pk_mul_f32 v[28:29], v[6:7], v[34:35] op_sel:[0,1]
	s_waitcnt vmcnt(3)
	v_pk_mul_f32 v[66:67], v[4:5], v[36:37] op_sel:[0,1]
	v_pk_fma_f32 v[64:65], v[6:7], v[34:35], v[28:29] op_sel:[0,0,1] op_sel_hi:[1,1,0]
	v_pk_fma_f32 v[6:7], v[6:7], v[34:35], v[28:29] op_sel:[0,0,1] op_sel_hi:[1,0,0] neg_lo:[0,0,1] neg_hi:[0,0,1]
	v_pk_fma_f32 v[68:69], v[4:5], v[36:37], v[66:67] op_sel:[0,0,1] op_sel_hi:[1,1,0]
	v_mov_b32_e32 v65, v7
	ds_read_b64 v[6:7], v17
	s_waitcnt lgkmcnt(1)
	v_pk_add_f32 v[34:35], v[30:31], v[64:65] neg_lo:[0,1] neg_hi:[0,1]
	v_pk_fma_f32 v[4:5], v[4:5], v[36:37], v[66:67] op_sel:[0,0,1] op_sel_hi:[1,0,0] neg_lo:[0,0,1] neg_hi:[0,0,1]
	v_pk_fma_f32 v[64:65], v[30:31], 2.0, v[34:35] op_sel_hi:[1,0,1] neg_lo:[0,0,1] neg_hi:[0,0,1]
	ds_read2_b64 v[28:31], v27 offset0:168 offset1:220
	v_mov_b32_e32 v69, v5
	s_waitcnt lgkmcnt(1)
	v_pk_add_f32 v[36:37], v[6:7], v[68:69] neg_lo:[0,1] neg_hi:[0,1]
	s_waitcnt vmcnt(1) lgkmcnt(0)
	v_pk_mul_f32 v[4:5], v[30:31], v[40:41] op_sel:[0,1]
	v_pk_fma_f32 v[66:67], v[6:7], 2.0, v[36:37] op_sel_hi:[1,0,1] neg_lo:[0,0,1] neg_hi:[0,0,1]
	ds_read_b64 v[6:7], v18
	v_pk_fma_f32 v[68:69], v[30:31], v[40:41], v[4:5] op_sel:[0,0,1] op_sel_hi:[1,1,0]
	v_pk_fma_f32 v[4:5], v[30:31], v[40:41], v[4:5] op_sel:[0,0,1] op_sel_hi:[1,0,0] neg_lo:[0,0,1] neg_hi:[0,0,1]
	ds_read_b64 v[30:31], v19
	v_mov_b32_e32 v69, v5
	v_pk_mul_f32 v[4:5], v[28:29], v[38:39] op_sel:[0,1]
	s_nop 0
	v_pk_fma_f32 v[70:71], v[28:29], v[38:39], v[4:5] op_sel:[0,0,1] op_sel_hi:[1,1,0]
	v_pk_fma_f32 v[28:29], v[28:29], v[38:39], v[4:5] op_sel:[0,0,1] op_sel_hi:[1,0,0] neg_lo:[0,0,1] neg_hi:[0,0,1]
	s_nop 0
	v_mov_b32_e32 v71, v29
	ds_read_b64 v[28:29], v20
	s_waitcnt lgkmcnt(2)
	v_pk_add_f32 v[40:41], v[6:7], v[68:69] neg_lo:[0,1] neg_hi:[0,1]
	s_waitcnt lgkmcnt(1)
	v_pk_add_f32 v[38:39], v[30:31], v[70:71] neg_lo:[0,1] neg_hi:[0,1]
	v_pk_fma_f32 v[68:69], v[6:7], 2.0, v[40:41] op_sel_hi:[1,0,1] neg_lo:[0,0,1] neg_hi:[0,0,1]
	ds_read2_b64 v[4:7], v27 offset0:64 offset1:116
	v_pk_fma_f32 v[30:31], v[30:31], 2.0, v[38:39] op_sel_hi:[1,0,1] neg_lo:[0,0,1] neg_hi:[0,0,1]
	s_waitcnt lgkmcnt(0)
	v_pk_mul_f32 v[70:71], v[6:7], v[2:3] op_sel:[0,1]
	s_nop 0
	v_pk_fma_f32 v[102:103], v[6:7], v[2:3], v[70:71] op_sel:[0,0,1] op_sel_hi:[1,1,0]
	v_pk_fma_f32 v[2:3], v[6:7], v[2:3], v[70:71] op_sel:[0,0,1] op_sel_hi:[1,0,0] neg_lo:[0,0,1] neg_hi:[0,0,1]
	v_pk_mul_f32 v[70:71], v[4:5], v[0:1] op_sel:[0,1]
	v_mov_b32_e32 v103, v3
	v_pk_add_f32 v[6:7], v[28:29], v[102:103] neg_lo:[0,1] neg_hi:[0,1]
	v_pk_fma_f32 v[102:103], v[4:5], v[0:1], v[70:71] op_sel:[0,0,1] op_sel_hi:[1,1,0]
	v_pk_fma_f32 v[0:1], v[4:5], v[0:1], v[70:71] op_sel:[0,0,1] op_sel_hi:[1,0,0] neg_lo:[0,0,1] neg_hi:[0,0,1]
	v_pk_mul_f32 v[4:5], v[10:11], v[32:33] op_sel:[0,1]
	ds_read_b64 v[2:3], v21
	v_pk_fma_f32 v[70:71], v[10:11], v[32:33], v[4:5] op_sel:[0,0,1] op_sel_hi:[1,1,0]
	v_pk_fma_f32 v[4:5], v[10:11], v[32:33], v[4:5] op_sel:[0,0,1] op_sel_hi:[1,0,0] neg_lo:[0,0,1] neg_hi:[0,0,1]
	v_mov_b32_e32 v103, v1
	v_mov_b32_e32 v71, v5
	v_pk_add_f32 v[4:5], v[42:43], v[70:71] neg_lo:[0,1] neg_hi:[0,1]
	s_waitcnt lgkmcnt(0)
	v_pk_add_f32 v[0:1], v[2:3], v[102:103] neg_lo:[0,1] neg_hi:[0,1]
	v_pk_fma_f32 v[10:11], v[42:43], 2.0, v[4:5] op_sel_hi:[1,0,1] neg_lo:[0,0,1] neg_hi:[0,0,1]
	s_waitcnt vmcnt(0)
	v_pk_mul_f32 v[32:33], v[54:55], v[8:9] op_sel:[0,1]
	s_nop 0
	v_pk_fma_f32 v[42:43], v[54:55], v[8:9], v[32:33] op_sel:[0,0,1] op_sel_hi:[1,1,0]
	v_pk_fma_f32 v[8:9], v[54:55], v[8:9], v[32:33] op_sel:[0,0,1] op_sel_hi:[1,0,0] neg_lo:[1,0,0] neg_hi:[1,0,0]
	; wave barrier
	s_nop 0
	v_mov_b32_e32 v43, v9
	v_pk_add_f32 v[8:9], v[44:45], v[42:43] neg_lo:[0,1] neg_hi:[0,1]
	v_add_u32_e32 v42, 0x400, v77
	v_pk_fma_f32 v[32:33], v[44:45], 2.0, v[8:9] op_sel_hi:[1,0,1] neg_lo:[0,0,1] neg_hi:[0,0,1]
	ds_write2_b64 v130, v[48:49], v[52:53] offset1:52
	ds_write2_b64 v130, v[46:47], v[50:51] offset0:104 offset1:156
	ds_write2_b64 v42, v[32:33], v[8:9] offset0:80 offset1:132
	v_add_u32_e32 v8, 0x800, v79
	v_pk_fma_f32 v[2:3], v[2:3], 2.0, v[0:1] op_sel_hi:[1,0,1] neg_lo:[0,0,1] neg_hi:[0,0,1]
	ds_write2_b64 v8, v[10:11], v[4:5] offset0:56 offset1:108
	v_add_u32_e32 v4, 0x800, v81
	v_pk_fma_f32 v[28:29], v[28:29], 2.0, v[6:7] op_sel_hi:[1,0,1] neg_lo:[0,0,1] neg_hi:[0,0,1]
	ds_write2_b64 v4, v[2:3], v[0:1] offset0:160 offset1:212
	v_add_u32_e32 v0, 0x1000, v83
	ds_write2_b64 v0, v[28:29], v[6:7] offset0:8 offset1:60
	v_add_u32_e32 v0, 0x1000, v85
	ds_write2_b64 v0, v[30:31], v[38:39] offset0:112 offset1:164
	v_add_u32_e32 v0, 0x1400, v87
	ds_write2_b64 v0, v[68:69], v[40:41] offset0:88 offset1:140
	v_add_u32_e32 v0, 0x1800, v89
	ds_write2_b64 v0, v[66:67], v[36:37] offset0:64 offset1:116
	v_add_u32_e32 v0, 0x1800, v91
	ds_write2_b64 v0, v[64:65], v[34:35] offset0:168 offset1:220
	v_add_u32_e32 v0, 0x2000, v93
	ds_write2_b64 v0, v[62:63], v[60:61] offset0:16 offset1:68
	v_add_u32_e32 v0, 0x2000, v95
	ds_write2_b64 v0, v[58:59], v[56:57] offset0:120 offset1:172
	v_lshl_add_u64 v[0:1], v[100:101], 3, s[4:5]
	s_waitcnt lgkmcnt(0)
	; wave barrier
	s_waitcnt lgkmcnt(0)
	global_load_dwordx4 v[28:31], v[0:1], off offset:816
	v_lshl_add_u64 v[0:1], v[98:99], 3, s[4:5]
	global_load_dwordx4 v[32:35], v[0:1], off offset:816
	v_add_u32_e32 v0, 0xc00, v130
	ds_read2_b64 v[40:43], v0 offset0:84 offset1:136
	v_lshrrev_b32_e32 v0, 21, v104
	v_mul_lo_u16_e32 v0, 0x68, v0
	v_sub_u16_e32 v77, v92, v0
	v_lshrrev_b32_e32 v0, 21, v105
	v_mul_lo_u16_e32 v0, 0x68, v0
	v_lshlrev_b32_e32 v4, 4, v77
	v_sub_u16_e32 v79, v88, v0
	ds_read2_b64 v[36:39], v27 offset0:12 offset1:64
	v_lshlrev_b32_e32 v5, 4, v79
	global_load_dwordx4 v[0:3], v4, s[4:5] offset:816
	global_load_dwordx4 v[8:11], v5, s[4:5] offset:816
	v_lshrrev_b32_e32 v4, 21, v107
	v_mul_lo_u16_e32 v4, 0x68, v4
	v_sub_u16_e32 v81, v86, v4
	v_lshrrev_b32_e32 v4, 21, v108
	v_mul_lo_u16_e32 v4, 0x68, v4
	v_lshlrev_b32_e32 v52, 4, v81
	v_sub_u16_e32 v83, v84, v4
	v_add_u32_e32 v4, 0x1c00, v130
	v_lshlrev_b32_e32 v53, 4, v83
	ds_read2_b64 v[4:7], v4 offset0:92 offset1:144
	global_load_dwordx4 v[44:47], v52, s[4:5] offset:816
	global_load_dwordx4 v[48:51], v53, s[4:5] offset:816
	ds_read_b64 v[60:61], v22
	ds_read2_b64 v[52:55], v24 offset0:60 offset1:112
	ds_read_b64 v[66:67], v17
	v_lshl_add_u32 v77, v77, 3, 0
	v_lshl_add_u32 v79, v79, 3, 0
	;; [unrolled: 1-line block ×4, first 2 shown]
	v_mov_b32_e32 v89, v73
	v_mov_b32_e32 v93, v73
	;; [unrolled: 1-line block ×6, first 2 shown]
	s_waitcnt vmcnt(5)
	v_mov_b32_e32 v62, v31
	s_waitcnt lgkmcnt(3)
	v_pk_mul_f32 v[56:57], v[4:5], v[62:63] op_sel_hi:[1,0]
	s_waitcnt vmcnt(4) lgkmcnt(0)
	v_pk_mul_f32 v[70:71], v[32:33], v[66:67] op_sel:[0,1]
	v_pk_fma_f32 v[64:65], v[4:5], v[30:31], v[56:57] op_sel:[0,0,1] op_sel_hi:[1,1,0]
	v_pk_fma_f32 v[4:5], v[4:5], v[30:31], v[56:57] op_sel:[0,0,1] op_sel_hi:[1,0,0] neg_lo:[0,0,1] neg_hi:[0,0,1]
	v_pk_mul_f32 v[104:105], v[42:43], v[32:33] op_sel:[0,1]
	v_mov_b32_e32 v65, v5
	ds_read2_b64 v[56:59], v27 offset0:116 offset1:168
	ds_read_b64 v[4:5], v130
	ds_read_b64 v[68:69], v18
	v_pk_fma_f32 v[98:99], v[32:33], v[66:67], v[70:71] op_sel:[0,0,1] op_sel_hi:[1,1,0]
	v_pk_fma_f32 v[66:67], v[32:33], v[66:67], v[70:71] op_sel:[0,0,1] op_sel_hi:[1,0,0] neg_lo:[1,0,0] neg_hi:[1,0,0]
	v_pk_fma_f32 v[106:107], v[42:43], v[32:33], v[104:105] op_sel:[0,0,1] op_sel_hi:[1,1,0]
	v_pk_fma_f32 v[32:33], v[42:43], v[32:33], v[104:105] op_sel:[0,0,1] op_sel_hi:[1,0,0] neg_lo:[0,0,1] neg_hi:[0,0,1]
	v_mov_b32_e32 v99, v67
	v_pk_mul_f32 v[66:67], v[34:35], v[38:39] op_sel:[0,1]
	v_mov_b32_e32 v32, v35
	v_pk_fma_f32 v[70:71], v[34:35], v[38:39], v[66:67] op_sel:[0,0,1] op_sel_hi:[1,1,0]
	v_pk_fma_f32 v[38:39], v[34:35], v[38:39], v[66:67] op_sel:[0,0,1] op_sel_hi:[1,0,0] neg_lo:[1,0,0] neg_hi:[1,0,0]
	v_mov_b32_e32 v107, v33
	s_waitcnt lgkmcnt(2)
	v_pk_mul_f32 v[32:33], v[58:59], v[32:33] op_sel_hi:[1,0]
	v_mov_b32_e32 v71, v39
	ds_read_b64 v[38:39], v23
	ds_read_b64 v[66:67], v131
	ds_read_b64 v[100:101], v130 offset:9568
	v_pk_fma_f32 v[42:43], v[58:59], v[34:35], v[32:33] op_sel:[0,0,1] op_sel_hi:[1,1,0]
	v_pk_fma_f32 v[32:33], v[58:59], v[34:35], v[32:33] op_sel:[0,0,1] op_sel_hi:[1,0,0] neg_lo:[0,0,1] neg_hi:[0,0,1]
	s_waitcnt lgkmcnt(4)
	v_pk_add_f32 v[102:103], v[4:5], v[98:99]
	v_mov_b32_e32 v43, v33
	v_pk_add_f32 v[32:33], v[106:107], v[42:43]
	v_pk_add_f32 v[34:35], v[106:107], v[42:43] neg_lo:[0,1] neg_hi:[0,1]
	s_waitcnt lgkmcnt(2)
	v_pk_fma_f32 v[32:33], v[32:33], 0.5, v[38:39] op_sel_hi:[1,0,1] neg_lo:[1,0,0] neg_hi:[1,0,0]
	v_pk_mul_f32 v[34:35], v[34:35], s[2:3] op_sel_hi:[1,0]
	v_pk_add_f32 v[102:103], v[102:103], v[70:71]
	v_pk_add_f32 v[58:59], v[32:33], v[34:35] op_sel:[0,1] op_sel_hi:[1,0] neg_lo:[0,1] neg_hi:[0,1]
	v_pk_add_f32 v[104:105], v[32:33], v[34:35] op_sel:[0,1] op_sel_hi:[1,0]
	v_pk_add_f32 v[32:33], v[98:99], v[70:71]
	s_nop 0
	v_pk_fma_f32 v[4:5], v[32:33], 0.5, v[4:5] op_sel_hi:[1,0,1] neg_lo:[1,0,0] neg_hi:[1,0,0]
	v_pk_add_f32 v[32:33], v[98:99], v[70:71] neg_lo:[0,1] neg_hi:[0,1]
	s_nop 0
	v_pk_mul_f32 v[32:33], v[32:33], s[2:3] op_sel_hi:[1,0]
	s_nop 0
	v_pk_add_f32 v[70:71], v[4:5], v[32:33] op_sel:[0,1] op_sel_hi:[1,0] neg_lo:[0,1] neg_hi:[0,1]
	v_pk_add_f32 v[4:5], v[4:5], v[32:33] op_sel:[0,1] op_sel_hi:[1,0]
	v_pk_mul_f32 v[32:33], v[28:29], v[40:41] op_sel:[0,1]
	s_nop 0
	v_pk_fma_f32 v[34:35], v[28:29], v[40:41], v[32:33] op_sel:[0,0,1] op_sel_hi:[1,1,0]
	v_pk_fma_f32 v[32:33], v[28:29], v[40:41], v[32:33] op_sel:[0,0,1] op_sel_hi:[1,0,0] neg_lo:[1,0,0] neg_hi:[1,0,0]
	s_nop 0
	v_mov_b32_e32 v35, v33
	v_pk_mul_f32 v[32:33], v[56:57], v[62:63] op_sel_hi:[1,0]
	s_nop 0
	v_pk_fma_f32 v[40:41], v[56:57], v[30:31], v[32:33] op_sel:[0,0,1] op_sel_hi:[1,1,0]
	v_pk_fma_f32 v[30:31], v[56:57], v[30:31], v[32:33] op_sel:[0,0,1] op_sel_hi:[1,0,0] neg_lo:[0,0,1] neg_hi:[0,0,1]
	s_nop 0
	v_mov_b32_e32 v41, v31
	s_waitcnt lgkmcnt(1)
	v_pk_add_f32 v[30:31], v[66:67], v[34:35]
	s_nop 0
	v_pk_add_f32 v[56:57], v[30:31], v[40:41]
	v_pk_mul_f32 v[30:31], v[52:53], v[28:29] op_sel:[0,1]
	s_nop 0
	v_pk_fma_f32 v[32:33], v[52:53], v[28:29], v[30:31] op_sel:[0,0,1] op_sel_hi:[1,1,0]
	v_pk_fma_f32 v[28:29], v[52:53], v[28:29], v[30:31] op_sel:[0,0,1] op_sel_hi:[1,0,0] neg_lo:[0,0,1] neg_hi:[0,0,1]
	ds_read_b64 v[52:53], v19
	ds_read_b64 v[62:63], v20
	;; [unrolled: 1-line block ×3, first 2 shown]
	v_mov_b32_e32 v33, v29
	v_pk_add_f32 v[28:29], v[32:33], v[64:65]
	v_pk_add_f32 v[30:31], v[32:33], v[64:65] neg_lo:[0,1] neg_hi:[0,1]
	v_pk_fma_f32 v[28:29], v[28:29], 0.5, v[60:61] op_sel_hi:[1,0,1] neg_lo:[1,0,0] neg_hi:[1,0,0]
	v_pk_mul_f32 v[30:31], v[30:31], s[2:3] op_sel_hi:[1,0]
	s_nop 0
	v_pk_add_f32 v[108:109], v[28:29], v[30:31] op_sel:[0,1] op_sel_hi:[1,0] neg_lo:[0,1] neg_hi:[0,1]
	v_pk_add_f32 v[110:111], v[28:29], v[30:31] op_sel:[0,1] op_sel_hi:[1,0]
	v_pk_add_f32 v[28:29], v[34:35], v[40:41]
	v_pk_add_f32 v[30:31], v[34:35], v[40:41] neg_lo:[0,1] neg_hi:[0,1]
	v_pk_fma_f32 v[28:29], v[28:29], 0.5, v[66:67] op_sel_hi:[1,0,1] neg_lo:[1,0,0] neg_hi:[1,0,0]
	v_pk_mul_f32 v[30:31], v[30:31], s[2:3] op_sel_hi:[1,0]
	s_nop 0
	v_pk_add_f32 v[40:41], v[28:29], v[30:31] op_sel:[0,1] op_sel_hi:[1,0] neg_lo:[0,1] neg_hi:[0,1]
	v_pk_add_f32 v[66:67], v[28:29], v[30:31] op_sel:[0,1] op_sel_hi:[1,0]
	v_pk_add_f32 v[28:29], v[38:39], v[106:107]
	s_nop 0
	v_pk_add_f32 v[38:39], v[28:29], v[42:43]
	v_pk_add_f32 v[28:29], v[60:61], v[32:33]
	s_nop 0
	v_pk_add_f32 v[42:43], v[28:29], v[64:65]
	s_waitcnt vmcnt(0)
	v_pk_mul_f32 v[28:29], v[36:37], v[48:49] op_sel:[0,1]
	s_nop 0
	v_pk_fma_f32 v[60:61], v[36:37], v[48:49], v[28:29] op_sel:[0,0,1] op_sel_hi:[1,1,0]
	v_pk_fma_f32 v[28:29], v[36:37], v[48:49], v[28:29] op_sel:[0,0,1] op_sel_hi:[1,0,0] neg_lo:[0,0,1] neg_hi:[0,0,1]
	s_nop 0
	v_mov_b32_e32 v28, v51
	v_mov_b32_e32 v61, v29
	s_waitcnt lgkmcnt(3)
	v_pk_mul_f32 v[28:29], v[100:101], v[28:29] op_sel_hi:[1,0]
	s_nop 0
	v_pk_fma_f32 v[36:37], v[100:101], v[50:51], v[28:29] op_sel:[0,0,1] op_sel_hi:[1,1,0]
	v_pk_fma_f32 v[32:33], v[100:101], v[50:51], v[28:29] op_sel:[0,0,1] op_sel_hi:[1,0,0] neg_lo:[0,0,1] neg_hi:[0,0,1]
	ds_read2_b64 v[28:31], v24 offset0:164 offset1:216
	v_mov_b32_e32 v37, v33
	v_pk_add_f32 v[32:33], v[68:69], v[60:61]
	s_waitcnt lgkmcnt(0)
	v_pk_mul_f32 v[50:51], v[30:31], v[44:45] op_sel:[0,1]
	v_pk_add_f32 v[48:49], v[32:33], v[36:37]
	ds_read2_b64 v[32:35], v26 offset0:68 offset1:120
	v_pk_fma_f32 v[64:65], v[30:31], v[44:45], v[50:51] op_sel:[0,0,1] op_sel_hi:[1,1,0]
	v_pk_fma_f32 v[30:31], v[30:31], v[44:45], v[50:51] op_sel:[0,0,1] op_sel_hi:[1,0,0] neg_lo:[0,0,1] neg_hi:[0,0,1]
	s_waitcnt lgkmcnt(0)
	v_mov_b32_e32 v30, v47
	v_mov_b32_e32 v65, v31
	v_pk_mul_f32 v[30:31], v[34:35], v[30:31] op_sel_hi:[1,0]
	; wave barrier
	s_nop 0
	v_pk_fma_f32 v[44:45], v[34:35], v[46:47], v[30:31] op_sel:[0,0,1] op_sel_hi:[1,1,0]
	v_pk_fma_f32 v[30:31], v[34:35], v[46:47], v[30:31] op_sel:[0,0,1] op_sel_hi:[1,0,0] neg_lo:[0,0,1] neg_hi:[0,0,1]
	v_pk_mul_f32 v[34:35], v[28:29], v[8:9] op_sel:[0,1]
	v_mov_b32_e32 v45, v31
	v_pk_fma_f32 v[46:47], v[28:29], v[8:9], v[34:35] op_sel:[0,0,1] op_sel_hi:[1,1,0]
	v_pk_fma_f32 v[8:9], v[28:29], v[8:9], v[34:35] op_sel:[0,0,1] op_sel_hi:[1,0,0] neg_lo:[0,0,1] neg_hi:[0,0,1]
	v_pk_add_f32 v[30:31], v[52:53], v[64:65]
	v_mov_b32_e32 v8, v11
	v_mov_b32_e32 v47, v9
	v_pk_mul_f32 v[8:9], v[32:33], v[8:9] op_sel_hi:[1,0]
	v_pk_add_f32 v[30:31], v[30:31], v[44:45]
	v_pk_fma_f32 v[28:29], v[32:33], v[10:11], v[8:9] op_sel:[0,0,1] op_sel_hi:[1,1,0]
	v_pk_fma_f32 v[8:9], v[32:33], v[10:11], v[8:9] op_sel:[0,0,1] op_sel_hi:[1,0,0] neg_lo:[0,0,1] neg_hi:[0,0,1]
	v_pk_mul_f32 v[10:11], v[54:55], v[0:1] op_sel:[0,1]
	v_mov_b32_e32 v29, v9
	v_pk_fma_f32 v[32:33], v[54:55], v[0:1], v[10:11] op_sel:[0,0,1] op_sel_hi:[1,1,0]
	v_pk_fma_f32 v[0:1], v[54:55], v[0:1], v[10:11] op_sel:[0,0,1] op_sel_hi:[1,0,0] neg_lo:[0,0,1] neg_hi:[0,0,1]
	v_pk_add_f32 v[8:9], v[62:63], v[46:47]
	v_mov_b32_e32 v0, v3
	v_mov_b32_e32 v33, v1
	v_pk_mul_f32 v[0:1], v[6:7], v[0:1] op_sel_hi:[1,0]
	v_pk_add_f32 v[8:9], v[8:9], v[28:29]
	v_pk_fma_f32 v[10:11], v[6:7], v[2:3], v[0:1] op_sel:[0,0,1] op_sel_hi:[1,1,0]
	v_pk_fma_f32 v[0:1], v[6:7], v[2:3], v[0:1] op_sel:[0,0,1] op_sel_hi:[1,0,0] neg_lo:[0,0,1] neg_hi:[0,0,1]
	v_mov_b32_e32 v2, v70
	v_mov_b32_e32 v3, v5
	ds_write2_b64 v130, v[102:103], v[2:3] offset1:104
	v_mov_b32_e32 v5, v71
	v_mov_b32_e32 v2, v40
	;; [unrolled: 1-line block ×3, first 2 shown]
	ds_write_b64 v130, v[4:5] offset:1664
	ds_write2_b64 v131, v[56:57], v[2:3] offset1:104
	v_mov_b32_e32 v67, v41
	v_mov_b32_e32 v2, v58
	;; [unrolled: 1-line block ×3, first 2 shown]
	v_add_u32_e32 v4, 0x800, v130
	v_mov_b32_e32 v11, v1
	ds_write_b64 v131, v[66:67] offset:1664
	ds_write2_b64 v4, v[38:39], v[2:3] offset0:56 offset1:160
	v_mov_b32_e32 v105, v59
	v_mov_b32_e32 v2, v108
	;; [unrolled: 1-line block ×3, first 2 shown]
	v_add_u32_e32 v4, 0x800, v131
	ds_write_b64 v130, v[104:105] offset:4160
	ds_write2_b64 v4, v[42:43], v[2:3] offset0:56 offset1:160
	v_pk_add_f32 v[2:3], v[32:33], v[10:11]
	v_pk_add_f32 v[4:5], v[32:33], v[10:11] neg_lo:[0,1] neg_hi:[0,1]
	v_pk_fma_f32 v[2:3], v[2:3], 0.5, v[98:99] op_sel_hi:[1,0,1] neg_lo:[1,0,0] neg_hi:[1,0,0]
	v_pk_mul_f32 v[4:5], v[4:5], s[2:3] op_sel_hi:[1,0]
	v_pk_add_f32 v[0:1], v[98:99], v[32:33]
	v_pk_add_f32 v[6:7], v[2:3], v[4:5] op_sel:[0,1] op_sel_hi:[1,0] neg_lo:[0,1] neg_hi:[0,1]
	v_pk_add_f32 v[2:3], v[2:3], v[4:5] op_sel:[0,1] op_sel_hi:[1,0]
	v_pk_add_f32 v[0:1], v[0:1], v[10:11]
	v_mov_b32_e32 v111, v109
	v_mov_b32_e32 v4, v6
	;; [unrolled: 1-line block ×3, first 2 shown]
	v_add_u32_e32 v3, 0x1000, v77
	ds_write_b64 v131, v[110:111] offset:4160
	ds_write2_b64 v3, v[0:1], v[4:5] offset0:112 offset1:216
	v_mov_b32_e32 v3, v7
	ds_write_b64 v77, v[2:3] offset:6656
	v_pk_add_f32 v[0:1], v[46:47], v[28:29]
	v_pk_add_f32 v[2:3], v[46:47], v[28:29] neg_lo:[0,1] neg_hi:[0,1]
	v_pk_fma_f32 v[0:1], v[0:1], 0.5, v[62:63] op_sel_hi:[1,0,1] neg_lo:[1,0,0] neg_hi:[1,0,0]
	v_pk_mul_f32 v[2:3], v[2:3], s[2:3] op_sel_hi:[1,0]
	v_lshl_add_u64 v[40:41], v[92:93], 3, s[4:5]
	v_pk_add_f32 v[4:5], v[0:1], v[2:3] op_sel:[0,1] op_sel_hi:[1,0] neg_lo:[0,1] neg_hi:[0,1]
	v_pk_add_f32 v[0:1], v[0:1], v[2:3] op_sel:[0,1] op_sel_hi:[1,0]
	v_mov_b32_e32 v2, v4
	v_mov_b32_e32 v3, v1
	v_add_u32_e32 v1, 0x1000, v79
	ds_write2_b64 v1, v[8:9], v[2:3] offset0:112 offset1:216
	v_mov_b32_e32 v1, v5
	ds_write_b64 v79, v[0:1] offset:6656
	v_pk_add_f32 v[0:1], v[64:65], v[44:45]
	v_pk_add_f32 v[2:3], v[64:65], v[44:45] neg_lo:[0,1] neg_hi:[0,1]
	v_pk_fma_f32 v[0:1], v[0:1], 0.5, v[52:53] op_sel_hi:[1,0,1] neg_lo:[1,0,0] neg_hi:[1,0,0]
	v_pk_mul_f32 v[2:3], v[2:3], s[2:3] op_sel_hi:[1,0]
	v_lshl_add_u64 v[44:45], v[94:95], 3, s[4:5]
	v_pk_add_f32 v[4:5], v[0:1], v[2:3] op_sel:[0,1] op_sel_hi:[1,0] neg_lo:[0,1] neg_hi:[0,1]
	v_pk_add_f32 v[0:1], v[0:1], v[2:3] op_sel:[0,1] op_sel_hi:[1,0]
	v_mov_b32_e32 v2, v4
	v_mov_b32_e32 v3, v1
	v_add_u32_e32 v1, 0x1c00, v81
	;; [unrolled: 13-line block ×3, first 2 shown]
	ds_write2_b64 v1, v[48:49], v[2:3] offset0:40 offset1:144
	v_mov_b32_e32 v1, v5
	ds_write_b64 v83, v[0:1] offset:9152
	s_waitcnt lgkmcnt(0)
	; wave barrier
	s_waitcnt lgkmcnt(0)
	global_load_dwordx2 v[38:39], v[36:37], off offset:2480
	global_load_dwordx2 v[42:43], v[40:41], off offset:2480
	;; [unrolled: 1-line block ×3, first 2 shown]
	v_lshl_add_u64 v[0:1], v[90:91], 3, s[4:5]
	global_load_dwordx2 v[48:49], v[0:1], off offset:2480
	v_lshl_add_u64 v[2:3], v[96:97], 3, s[4:5]
	global_load_dwordx2 v[50:51], v[2:3], off offset:2480
	global_load_dwordx2 v[52:53], v[12:13], off offset:2480
	ds_read2_b64 v[4:7], v26 offset0:120 offset1:172
	ds_read2_b64 v[8:11], v24 offset0:112 offset1:164
	;; [unrolled: 1-line block ×3, first 2 shown]
	ds_read_b64 v[54:55], v14
	ds_read_b64 v[56:57], v15
	;; [unrolled: 1-line block ×3, first 2 shown]
	s_movk_i32 s2, 0x1000
	v_mov_b32_e32 v77, v73
	v_mov_b32_e32 v79, v73
	;; [unrolled: 1-line block ×4, first 2 shown]
	s_waitcnt vmcnt(5) lgkmcnt(5)
	v_pk_mul_f32 v[32:33], v[6:7], v[38:39] op_sel:[0,1]
	s_nop 0
	v_pk_fma_f32 v[34:35], v[6:7], v[38:39], v[32:33] op_sel:[0,0,1] op_sel_hi:[1,1,0]
	v_pk_fma_f32 v[6:7], v[6:7], v[38:39], v[32:33] op_sel:[0,0,1] op_sel_hi:[1,0,0] neg_lo:[0,0,1] neg_hi:[0,0,1]
	s_waitcnt vmcnt(2) lgkmcnt(4)
	v_pk_mul_f32 v[68:69], v[48:49], v[10:11] op_sel:[0,1]
	v_mov_b32_e32 v35, v7
	s_waitcnt lgkmcnt(2)
	v_pk_add_f32 v[58:59], v[54:55], v[34:35] neg_lo:[0,1] neg_hi:[0,1]
	ds_read2_b64 v[32:35], v26 offset0:16 offset1:68
	v_pk_mul_f32 v[6:7], v[4:5], v[42:43] op_sel:[0,1]
	v_pk_fma_f32 v[70:71], v[48:49], v[10:11], v[68:69] op_sel:[0,0,1] op_sel_hi:[1,1,0]
	v_pk_fma_f32 v[60:61], v[4:5], v[42:43], v[6:7] op_sel:[0,0,1] op_sel_hi:[1,1,0]
	v_pk_fma_f32 v[4:5], v[4:5], v[42:43], v[6:7] op_sel:[0,0,1] op_sel_hi:[1,0,0] neg_lo:[0,0,1] neg_hi:[0,0,1]
	v_pk_fma_f32 v[10:11], v[48:49], v[10:11], v[68:69] op_sel:[0,0,1] op_sel_hi:[1,0,0] neg_lo:[1,0,0] neg_hi:[1,0,0]
	v_mov_b32_e32 v61, v5
	s_waitcnt lgkmcnt(0)
	v_pk_mul_f32 v[4:5], v[34:35], v[46:47] op_sel:[0,1]
	v_mov_b32_e32 v71, v11
	v_pk_fma_f32 v[6:7], v[34:35], v[46:47], v[4:5] op_sel:[0,0,1] op_sel_hi:[1,1,0]
	v_pk_fma_f32 v[4:5], v[34:35], v[46:47], v[4:5] op_sel:[0,0,1] op_sel_hi:[1,0,0] neg_lo:[0,0,1] neg_hi:[0,0,1]
	ds_read_b64 v[34:35], v17
	v_mov_b32_e32 v7, v5
	v_pk_add_f32 v[64:65], v[62:63], v[6:7] neg_lo:[0,1] neg_hi:[0,1]
	ds_read2_b64 v[4:7], v27 offset0:168 offset1:220
	ds_read_b64 v[66:67], v131
	ds_read_b64 v[10:11], v22
	;; [unrolled: 1-line block ×5, first 2 shown]
	v_pk_add_f32 v[60:61], v[56:57], v[60:61] neg_lo:[0,1] neg_hi:[0,1]
	s_waitcnt lgkmcnt(5)
	v_pk_mul_f32 v[100:101], v[6:7], v[48:49] op_sel:[0,1]
	s_waitcnt vmcnt(0)
	v_pk_mul_f32 v[106:107], v[4:5], v[52:53] op_sel:[0,1]
	v_pk_fma_f32 v[104:105], v[6:7], v[48:49], v[100:101] op_sel:[0,0,1] op_sel_hi:[1,1,0]
	v_pk_fma_f32 v[6:7], v[6:7], v[48:49], v[100:101] op_sel:[0,0,1] op_sel_hi:[1,0,0] neg_lo:[0,0,1] neg_hi:[0,0,1]
	ds_read_b64 v[48:49], v19
	v_mov_b32_e32 v105, v7
	v_pk_mul_f32 v[6:7], v[52:53], v[8:9] op_sel:[0,1]
	v_pk_fma_f32 v[108:109], v[4:5], v[52:53], v[106:107] op_sel:[0,0,1] op_sel_hi:[1,1,0]
	v_pk_fma_f32 v[4:5], v[4:5], v[52:53], v[106:107] op_sel:[0,0,1] op_sel_hi:[1,0,0] neg_lo:[0,0,1] neg_hi:[0,0,1]
	s_waitcnt lgkmcnt(5)
	v_pk_add_f32 v[70:71], v[66:67], v[70:71] neg_lo:[0,1] neg_hi:[0,1]
	v_mov_b32_e32 v109, v5
	ds_read_b64 v[4:5], v20
	s_waitcnt lgkmcnt(2)
	v_pk_add_f32 v[100:101], v[102:103], v[104:105] neg_lo:[0,1] neg_hi:[0,1]
	v_pk_fma_f32 v[104:105], v[52:53], v[8:9], v[6:7] op_sel:[0,0,1] op_sel_hi:[1,1,0]
	v_pk_fma_f32 v[6:7], v[52:53], v[8:9], v[6:7] op_sel:[0,0,1] op_sel_hi:[1,0,0] neg_lo:[1,0,0] neg_hi:[1,0,0]
	s_waitcnt lgkmcnt(1)
	v_pk_add_f32 v[52:53], v[48:49], v[108:109] neg_lo:[0,1] neg_hi:[0,1]
	v_mov_b32_e32 v105, v7
	ds_read2_b64 v[6:9], v27 offset0:64 offset1:116
	v_pk_add_f32 v[104:105], v[98:99], v[104:105] neg_lo:[0,1] neg_hi:[0,1]
	v_pk_fma_f32 v[66:67], v[66:67], 2.0, v[70:71] op_sel_hi:[1,0,1] neg_lo:[0,0,1] neg_hi:[0,0,1]
	v_pk_fma_f32 v[98:99], v[98:99], 2.0, v[104:105] op_sel_hi:[1,0,1] neg_lo:[0,0,1] neg_hi:[0,0,1]
	s_waitcnt lgkmcnt(0)
	v_pk_mul_f32 v[106:107], v[8:9], v[38:39] op_sel:[0,1]
	s_nop 0
	v_pk_fma_f32 v[108:109], v[8:9], v[38:39], v[106:107] op_sel:[0,0,1] op_sel_hi:[1,1,0]
	v_pk_fma_f32 v[8:9], v[8:9], v[38:39], v[106:107] op_sel:[0,0,1] op_sel_hi:[1,0,0] neg_lo:[0,0,1] neg_hi:[0,0,1]
	v_pk_mul_f32 v[106:107], v[6:7], v[42:43] op_sel:[0,1]
	v_mov_b32_e32 v109, v9
	ds_read_b64 v[8:9], v21
	v_pk_add_f32 v[38:39], v[4:5], v[108:109] neg_lo:[0,1] neg_hi:[0,1]
	v_pk_fma_f32 v[108:109], v[6:7], v[42:43], v[106:107] op_sel:[0,0,1] op_sel_hi:[1,1,0]
	v_pk_fma_f32 v[6:7], v[6:7], v[42:43], v[106:107] op_sel:[0,0,1] op_sel_hi:[1,0,0] neg_lo:[0,0,1] neg_hi:[0,0,1]
	v_pk_mul_f32 v[42:43], v[30:31], v[46:47] op_sel:[0,1]
	v_mov_b32_e32 v109, v7
	v_pk_fma_f32 v[106:107], v[30:31], v[46:47], v[42:43] op_sel:[0,0,1] op_sel_hi:[1,1,0]
	v_pk_fma_f32 v[30:31], v[30:31], v[46:47], v[42:43] op_sel:[0,0,1] op_sel_hi:[1,0,0] neg_lo:[0,0,1] neg_hi:[0,0,1]
	v_pk_mul_f32 v[42:43], v[50:51], v[28:29] op_sel:[0,1]
	v_mov_b32_e32 v107, v31
	v_pk_fma_f32 v[46:47], v[50:51], v[28:29], v[42:43] op_sel:[0,0,1] op_sel_hi:[1,1,0]
	v_pk_fma_f32 v[28:29], v[50:51], v[28:29], v[42:43] op_sel:[0,0,1] op_sel_hi:[1,0,0] neg_lo:[1,0,0] neg_hi:[1,0,0]
	v_pk_fma_f32 v[4:5], v[4:5], 2.0, v[38:39] op_sel_hi:[1,0,1] neg_lo:[0,0,1] neg_hi:[0,0,1]
	v_mov_b32_e32 v47, v29
	v_pk_add_f32 v[28:29], v[68:69], v[46:47] neg_lo:[0,1] neg_hi:[0,1]
	v_pk_mul_f32 v[46:47], v[32:33], v[50:51] op_sel:[0,1]
	s_waitcnt lgkmcnt(0)
	v_pk_add_f32 v[6:7], v[8:9], v[108:109] neg_lo:[0,1] neg_hi:[0,1]
	v_pk_add_f32 v[30:31], v[10:11], v[106:107] neg_lo:[0,1] neg_hi:[0,1]
	v_pk_fma_f32 v[42:43], v[68:69], 2.0, v[28:29] op_sel_hi:[1,0,1] neg_lo:[0,0,1] neg_hi:[0,0,1]
	v_pk_fma_f32 v[68:69], v[32:33], v[50:51], v[46:47] op_sel:[0,0,1] op_sel_hi:[1,1,0]
	v_pk_fma_f32 v[32:33], v[32:33], v[50:51], v[46:47] op_sel:[0,0,1] op_sel_hi:[1,0,0] neg_lo:[0,0,1] neg_hi:[0,0,1]
	v_pk_fma_f32 v[8:9], v[8:9], 2.0, v[6:7] op_sel_hi:[1,0,1] neg_lo:[0,0,1] neg_hi:[0,0,1]
	v_pk_fma_f32 v[10:11], v[10:11], 2.0, v[30:31] op_sel_hi:[1,0,1] neg_lo:[0,0,1] neg_hi:[0,0,1]
	v_mov_b32_e32 v69, v33
	s_waitcnt lgkmcnt(0)
	; wave barrier
	ds_write_b64 v130, v[98:99]
	ds_write_b64 v130, v[104:105] offset:2496
	ds_write_b64 v131, v[66:67]
	ds_write_b64 v131, v[70:71] offset:2496
	;; [unrolled: 2-line block ×6, first 2 shown]
	v_pk_fma_f32 v[4:5], v[48:49], 2.0, v[52:53] op_sel_hi:[1,0,1] neg_lo:[0,0,1] neg_hi:[0,0,1]
	v_pk_add_f32 v[32:33], v[34:35], v[68:69] neg_lo:[0,1] neg_hi:[0,1]
	ds_write_b64 v130, v[4:5] offset:4992
	ds_write_b64 v130, v[52:53] offset:7488
	v_pk_fma_f32 v[4:5], v[102:103], 2.0, v[100:101] op_sel_hi:[1,0,1] neg_lo:[0,0,1] neg_hi:[0,0,1]
	ds_write_b64 v131, v[4:5] offset:4992
	ds_write_b64 v131, v[100:101] offset:7488
	v_pk_fma_f32 v[4:5], v[34:35], 2.0, v[32:33] op_sel_hi:[1,0,1] neg_lo:[0,0,1] neg_hi:[0,0,1]
	;; [unrolled: 3-line block ×5, first 2 shown]
	ds_write_b64 v20, v[4:5] offset:4992
	ds_write_b64 v20, v[58:59] offset:7488
	v_add_co_u32_e32 v4, vcc, s2, v36
	s_waitcnt lgkmcnt(0)
	s_nop 0
	v_addc_co_u32_e32 v5, vcc, 0, v37, vcc
	; wave barrier
	global_load_dwordx2 v[28:29], v[4:5], off offset:880
	v_add_co_u32_e32 v4, vcc, s2, v40
	s_nop 1
	v_addc_co_u32_e32 v5, vcc, 0, v41, vcc
	global_load_dwordx2 v[30:31], v[4:5], off offset:880
	v_add_co_u32_e32 v4, vcc, s2, v44
	s_nop 1
	v_addc_co_u32_e32 v5, vcc, 0, v45, vcc
	;; [unrolled: 4-line block ×4, first 2 shown]
	global_load_dwordx2 v[36:37], v[0:1], off offset:880
	v_add_co_u32_e32 v0, vcc, s2, v12
	v_lshl_add_u64 v[2:3], v[76:77], 3, s[4:5]
	s_nop 0
	v_addc_co_u32_e32 v1, vcc, 0, v13, vcc
	global_load_dwordx2 v[12:13], v[0:1], off offset:880
	v_add_co_u32_e32 v0, vcc, s2, v2
	s_nop 1
	v_addc_co_u32_e32 v1, vcc, 0, v3, vcc
	v_lshl_add_u64 v[2:3], v[78:79], 3, s[4:5]
	global_load_dwordx2 v[38:39], v[0:1], off offset:880
	v_add_co_u32_e32 v2, vcc, s2, v2
	s_nop 1
	v_addc_co_u32_e32 v3, vcc, 0, v3, vcc
	global_load_dwordx2 v[40:41], v[2:3], off offset:880
	v_lshl_add_u64 v[0:1], v[80:81], 3, s[4:5]
	v_add_co_u32_e32 v0, vcc, s2, v0
	s_nop 1
	v_addc_co_u32_e32 v1, vcc, 0, v1, vcc
	global_load_dwordx2 v[42:43], v[0:1], off offset:880
	v_lshl_add_u64 v[0:1], v[82:83], 3, s[4:5]
	;; [unrolled: 5-line block ×3, first 2 shown]
	v_add_co_u32_e32 v0, vcc, s2, v0
	s_nop 1
	v_addc_co_u32_e32 v1, vcc, 0, v1, vcc
	global_load_dwordx2 v[46:47], v[0:1], off offset:880
	ds_read2_b64 v[0:3], v24 offset0:112 offset1:164
	ds_read2_b64 v[4:7], v25 offset0:88 offset1:140
	v_lshl_add_u64 v[24:25], v[86:87], 3, s[4:5]
	v_add_co_u32_e32 v24, vcc, s2, v24
	ds_read2_b64 v[8:11], v27 offset0:64 offset1:116
	s_nop 0
	v_addc_co_u32_e32 v25, vcc, 0, v25, vcc
	global_load_dwordx2 v[24:25], v[24:25], off offset:880
	ds_read_b64 v[48:49], v20
	s_add_u32 s2, s4, 0x26f0
	s_addc_u32 s3, s5, 0
	v_cmp_ne_u32_e32 vcc, 0, v72
	s_waitcnt vmcnt(11) lgkmcnt(1)
	v_pk_mul_f32 v[50:51], v[10:11], v[28:29] op_sel:[0,1]
	s_nop 0
	v_pk_fma_f32 v[52:53], v[10:11], v[28:29], v[50:51] op_sel:[0,0,1] op_sel_hi:[1,1,0]
	v_pk_fma_f32 v[10:11], v[10:11], v[28:29], v[50:51] op_sel:[0,0,1] op_sel_hi:[1,0,0] neg_lo:[0,0,1] neg_hi:[0,0,1]
	s_waitcnt vmcnt(10)
	v_pk_mul_f32 v[54:55], v[8:9], v[30:31] op_sel:[0,1]
	v_mov_b32_e32 v53, v11
	ds_read_b64 v[10:11], v18
	ds_read_b64 v[28:29], v19
	;; [unrolled: 1-line block ×3, first 2 shown]
	v_pk_fma_f32 v[56:57], v[8:9], v[30:31], v[54:55] op_sel:[0,0,1] op_sel_hi:[1,1,0]
	v_pk_fma_f32 v[8:9], v[8:9], v[30:31], v[54:55] op_sel:[0,0,1] op_sel_hi:[1,0,0] neg_lo:[0,0,1] neg_hi:[0,0,1]
	ds_read_b64 v[54:55], v22
	v_mov_b32_e32 v57, v9
	s_waitcnt lgkmcnt(1)
	v_pk_add_f32 v[8:9], v[50:51], v[56:57] neg_lo:[0,1] neg_hi:[0,1]
	v_pk_add_f32 v[52:53], v[48:49], v[52:53] neg_lo:[0,1] neg_hi:[0,1]
	v_pk_fma_f32 v[30:31], v[50:51], 2.0, v[8:9] op_sel_hi:[1,0,1] neg_lo:[0,0,1] neg_hi:[0,0,1]
	s_waitcnt vmcnt(9)
	v_pk_mul_f32 v[50:51], v[6:7], v[32:33] op_sel:[0,1]
	v_pk_fma_f32 v[48:49], v[48:49], 2.0, v[52:53] op_sel_hi:[1,0,1] neg_lo:[0,0,1] neg_hi:[0,0,1]
	v_pk_fma_f32 v[56:57], v[6:7], v[32:33], v[50:51] op_sel:[0,0,1] op_sel_hi:[1,1,0]
	v_pk_fma_f32 v[6:7], v[6:7], v[32:33], v[50:51] op_sel:[0,0,1] op_sel_hi:[1,0,0] neg_lo:[0,0,1] neg_hi:[0,0,1]
	s_waitcnt vmcnt(6)
	v_pk_mul_f32 v[58:59], v[12:13], v[0:1] op_sel:[0,1]
	v_mov_b32_e32 v57, v7
	ds_read_b64 v[6:7], v23
	s_waitcnt lgkmcnt(1)
	v_pk_add_f32 v[32:33], v[54:55], v[56:57] neg_lo:[0,1] neg_hi:[0,1]
	v_pk_fma_f32 v[60:61], v[12:13], v[0:1], v[58:59] op_sel:[0,0,1] op_sel_hi:[1,1,0]
	v_pk_fma_f32 v[50:51], v[54:55], 2.0, v[32:33] op_sel_hi:[1,0,1] neg_lo:[0,0,1] neg_hi:[0,0,1]
	v_pk_mul_f32 v[54:55], v[34:35], v[4:5] op_sel:[0,1]
	v_pk_fma_f32 v[0:1], v[12:13], v[0:1], v[58:59] op_sel:[0,0,1] op_sel_hi:[1,0,0] neg_lo:[1,0,0] neg_hi:[1,0,0]
	v_pk_fma_f32 v[56:57], v[34:35], v[4:5], v[54:55] op_sel:[0,0,1] op_sel_hi:[1,1,0]
	v_pk_fma_f32 v[4:5], v[34:35], v[4:5], v[54:55] op_sel:[0,0,1] op_sel_hi:[1,0,0] neg_lo:[1,0,0] neg_hi:[1,0,0]
	v_pk_mul_f32 v[54:55], v[36:37], v[2:3] op_sel:[0,1]
	v_mov_b32_e32 v57, v5
	ds_read_b64 v[4:5], v131
	s_waitcnt lgkmcnt(1)
	v_pk_add_f32 v[34:35], v[6:7], v[56:57] neg_lo:[0,1] neg_hi:[0,1]
	v_pk_fma_f32 v[56:57], v[36:37], v[2:3], v[54:55] op_sel:[0,0,1] op_sel_hi:[1,1,0]
	v_pk_fma_f32 v[2:3], v[36:37], v[2:3], v[54:55] op_sel:[0,0,1] op_sel_hi:[1,0,0] neg_lo:[1,0,0] neg_hi:[1,0,0]
	ds_read_b64 v[36:37], v130
	v_mov_b32_e32 v57, v3
	s_waitcnt lgkmcnt(1)
	v_pk_add_f32 v[54:55], v[4:5], v[56:57] neg_lo:[0,1] neg_hi:[0,1]
	ds_read_b64 v[58:59], v14
	v_pk_fma_f32 v[56:57], v[4:5], 2.0, v[54:55] op_sel_hi:[1,0,1] neg_lo:[0,0,1] neg_hi:[0,0,1]
	ds_read2_b64 v[2:5], v26 offset0:120 offset1:172
	v_mov_b32_e32 v61, v1
	s_waitcnt lgkmcnt(2)
	v_pk_add_f32 v[12:13], v[36:37], v[60:61] neg_lo:[0,1] neg_hi:[0,1]
	v_pk_fma_f32 v[6:7], v[6:7], 2.0, v[34:35] op_sel_hi:[1,0,1] neg_lo:[0,0,1] neg_hi:[0,0,1]
	v_pk_fma_f32 v[36:37], v[36:37], 2.0, v[12:13] op_sel_hi:[1,0,1] neg_lo:[0,0,1] neg_hi:[0,0,1]
	s_waitcnt vmcnt(5) lgkmcnt(0)
	v_pk_mul_f32 v[0:1], v[4:5], v[38:39] op_sel:[0,1]
	s_nop 0
	v_pk_fma_f32 v[60:61], v[4:5], v[38:39], v[0:1] op_sel:[0,0,1] op_sel_hi:[1,1,0]
	v_pk_fma_f32 v[0:1], v[4:5], v[38:39], v[0:1] op_sel:[0,0,1] op_sel_hi:[1,0,0] neg_lo:[0,0,1] neg_hi:[0,0,1]
	ds_read_b64 v[4:5], v15
	v_mov_b32_e32 v61, v1
	s_waitcnt vmcnt(4)
	v_pk_mul_f32 v[0:1], v[2:3], v[40:41] op_sel:[0,1]
	v_pk_add_f32 v[38:39], v[58:59], v[60:61] neg_lo:[0,1] neg_hi:[0,1]
	v_pk_fma_f32 v[60:61], v[2:3], v[40:41], v[0:1] op_sel:[0,0,1] op_sel_hi:[1,1,0]
	v_pk_fma_f32 v[40:41], v[2:3], v[40:41], v[0:1] op_sel:[0,0,1] op_sel_hi:[1,0,0] neg_lo:[0,0,1] neg_hi:[0,0,1]
	ds_read2_b64 v[0:3], v26 offset0:16 offset1:68
	v_mov_b32_e32 v61, v41
	s_waitcnt lgkmcnt(1)
	v_pk_add_f32 v[60:61], v[4:5], v[60:61] neg_lo:[0,1] neg_hi:[0,1]
	ds_read_b64 v[40:41], v16
	v_pk_fma_f32 v[62:63], v[4:5], 2.0, v[60:61] op_sel_hi:[1,0,1] neg_lo:[0,0,1] neg_hi:[0,0,1]
	s_waitcnt vmcnt(3) lgkmcnt(1)
	v_pk_mul_f32 v[4:5], v[2:3], v[42:43] op_sel:[0,1]
	s_waitcnt vmcnt(2)
	v_pk_mul_f32 v[66:67], v[0:1], v[44:45] op_sel:[0,1]
	v_pk_fma_f32 v[64:65], v[2:3], v[42:43], v[4:5] op_sel:[0,0,1] op_sel_hi:[1,1,0]
	v_pk_fma_f32 v[2:3], v[2:3], v[42:43], v[4:5] op_sel:[0,0,1] op_sel_hi:[1,0,0] neg_lo:[0,0,1] neg_hi:[0,0,1]
	ds_read_b64 v[42:43], v17
	v_mov_b32_e32 v65, v3
	ds_read2_b64 v[2:5], v27 offset0:168 offset1:220
	v_pk_fma_f32 v[68:69], v[0:1], v[44:45], v[66:67] op_sel:[0,0,1] op_sel_hi:[1,1,0]
	v_pk_fma_f32 v[0:1], v[0:1], v[44:45], v[66:67] op_sel:[0,0,1] op_sel_hi:[1,0,0] neg_lo:[0,0,1] neg_hi:[0,0,1]
	s_waitcnt lgkmcnt(2)
	v_pk_add_f32 v[64:65], v[40:41], v[64:65] neg_lo:[0,1] neg_hi:[0,1]
	v_mov_b32_e32 v69, v1
	s_waitcnt lgkmcnt(1)
	v_pk_add_f32 v[0:1], v[42:43], v[68:69] neg_lo:[0,1] neg_hi:[0,1]
	v_pk_fma_f32 v[58:59], v[58:59], 2.0, v[38:39] op_sel_hi:[1,0,1] neg_lo:[0,0,1] neg_hi:[0,0,1]
	v_pk_fma_f32 v[26:27], v[42:43], 2.0, v[0:1] op_sel_hi:[1,0,1] neg_lo:[0,0,1] neg_hi:[0,0,1]
	s_waitcnt vmcnt(1) lgkmcnt(0)
	v_pk_mul_f32 v[42:43], v[4:5], v[46:47] op_sel:[0,1]
	v_pk_fma_f32 v[40:41], v[40:41], 2.0, v[64:65] op_sel_hi:[1,0,1] neg_lo:[0,0,1] neg_hi:[0,0,1]
	v_pk_fma_f32 v[44:45], v[4:5], v[46:47], v[42:43] op_sel:[0,0,1] op_sel_hi:[1,1,0]
	v_pk_fma_f32 v[4:5], v[4:5], v[46:47], v[42:43] op_sel:[0,0,1] op_sel_hi:[1,0,0] neg_lo:[0,0,1] neg_hi:[0,0,1]
	s_waitcnt vmcnt(0)
	v_pk_mul_f32 v[42:43], v[2:3], v[24:25] op_sel:[0,1]
	v_mov_b32_e32 v45, v5
	v_pk_add_f32 v[4:5], v[10:11], v[44:45] neg_lo:[0,1] neg_hi:[0,1]
	v_pk_fma_f32 v[44:45], v[2:3], v[24:25], v[42:43] op_sel:[0,0,1] op_sel_hi:[1,1,0]
	v_pk_fma_f32 v[2:3], v[2:3], v[24:25], v[42:43] op_sel:[0,0,1] op_sel_hi:[1,0,0] neg_lo:[0,0,1] neg_hi:[0,0,1]
	v_pk_fma_f32 v[10:11], v[10:11], 2.0, v[4:5] op_sel_hi:[1,0,1] neg_lo:[0,0,1] neg_hi:[0,0,1]
	v_mov_b32_e32 v45, v3
	v_pk_add_f32 v[2:3], v[28:29], v[44:45] neg_lo:[0,1] neg_hi:[0,1]
	s_nop 0
	v_pk_fma_f32 v[24:25], v[28:29], 2.0, v[2:3] op_sel_hi:[1,0,1] neg_lo:[0,0,1] neg_hi:[0,0,1]
	; wave barrier
	ds_write_b64 v130, v[36:37]
	ds_write_b64 v130, v[12:13] offset:4992
	ds_write_b64 v131, v[56:57]
	ds_write_b64 v131, v[54:55] offset:4992
	;; [unrolled: 2-line block ×12, first 2 shown]
	s_waitcnt lgkmcnt(0)
	; wave barrier
	s_waitcnt lgkmcnt(0)
	ds_read_b64 v[4:5], v130
	v_sub_u32_e32 v6, 0, v132
                                        ; implicit-def: $vgpr2_vgpr3
                                        ; implicit-def: $vgpr1
	s_and_saveexec_b64 s[4:5], vcc
	s_xor_b64 s[4:5], exec, s[4:5]
	s_cbranch_execz .LBB0_19
; %bb.18:
	v_lshl_add_u64 v[0:1], v[72:73], 3, s[2:3]
	global_load_dwordx2 v[2:3], v[0:1], off
	ds_read_b64 v[0:1], v6 offset:9984
	v_mov_b32_e32 v9, 0.5
	v_mov_b32_e32 v10, v9
	s_waitcnt lgkmcnt(0)
	v_pk_add_f32 v[12:13], v[0:1], v[4:5]
	v_pk_add_f32 v[0:1], v[4:5], v[0:1] neg_lo:[0,1] neg_hi:[0,1]
	v_mov_b32_e32 v4, v13
	v_mov_b32_e32 v5, v0
	v_pk_mul_f32 v[4:5], v[4:5], 0.5 op_sel_hi:[1,0]
	s_waitcnt vmcnt(0)
	v_mov_b32_e32 v8, v3
	v_mov_b32_e32 v0, v5
	;; [unrolled: 1-line block ×4, first 2 shown]
	v_pk_mul_f32 v[0:1], v[8:9], v[0:1]
	v_pk_mul_f32 v[24:25], v[2:3], v[4:5] op_sel_hi:[0,1]
	v_pk_fma_f32 v[8:9], v[12:13], v[10:11], v[0:1]
	v_pk_fma_f32 v[10:11], v[12:13], v[10:11], v[0:1] neg_lo:[0,0,1] neg_hi:[0,0,1]
	v_add_f32_e32 v0, v24, v8
	v_sub_f32_e32 v1, v9, v25
	ds_write_b32 v130, v0
	v_pk_fma_f32 v[2:3], v[2:3], v[4:5], v[10:11] op_sel_hi:[0,1,1] neg_lo:[1,0,0] neg_hi:[1,0,0]
                                        ; implicit-def: $vgpr4_vgpr5
.LBB0_19:
	s_andn2_saveexec_b64 s[4:5], s[4:5]
	s_cbranch_execz .LBB0_21
; %bb.20:
	s_waitcnt lgkmcnt(0)
	v_mov_b32_e32 v0, v5
	v_pk_add_f32 v[0:1], v[4:5], v[0:1] neg_lo:[0,1] neg_hi:[0,1]
	v_add_f32_e32 v3, v5, v4
	v_mov_b32_e32 v1, 0
	ds_read_b32 v2, v1 offset:4996
	ds_write_b32 v130, v3
	s_waitcnt lgkmcnt(1)
	v_xor_b32_e32 v2, 0x80000000, v2
	ds_write_b32 v1, v2 offset:4996
	v_mov_b64_e32 v[2:3], v[0:1]
.LBB0_21:
	s_or_b64 exec, exec, s[4:5]
	s_waitcnt lgkmcnt(0)
	v_lshl_add_u64 v[4:5], v[90:91], 3, s[2:3]
	global_load_dwordx2 v[4:5], v[4:5], off
	v_lshl_add_u64 v[8:9], v[96:97], 3, s[2:3]
	global_load_dwordx2 v[8:9], v[8:9], off
	;; [unrolled: 2-line block ×4, first 2 shown]
	ds_write_b32 v130, v1 offset:4
	ds_write_b64 v6, v[2:3] offset:9984
	v_lshl_add_u64 v[2:3], v[88:89], 3, s[2:3]
	ds_read_b64 v[28:29], v131
	ds_read_b64 v[30:31], v6 offset:9568
	global_load_dwordx2 v[2:3], v[2:3], off
	v_mov_b32_e32 v1, 0.5
	v_mov_b32_e32 v36, v1
	v_lshl_add_u64 v[24:25], v[86:87], 3, s[2:3]
	s_waitcnt lgkmcnt(0)
	v_pk_add_f32 v[38:39], v[28:29], v[30:31]
	v_pk_add_f32 v[28:29], v[28:29], v[30:31] neg_lo:[0,1] neg_hi:[0,1]
	v_mov_b32_e32 v30, v39
	v_mov_b32_e32 v31, v28
	v_pk_mul_f32 v[30:31], v[30:31], 0.5 op_sel_hi:[1,0]
	v_lshl_add_u64 v[26:27], v[84:85], 3, s[2:3]
	v_mov_b32_e32 v28, v31
	v_mov_b32_e32 v39, v30
	v_lshl_add_u64 v[32:33], v[82:83], 3, s[2:3]
	v_lshl_add_u64 v[34:35], v[80:81], 3, s[2:3]
	s_waitcnt vmcnt(4)
	v_mov_b32_e32 v0, v5
	v_mov_b32_e32 v37, v5
	v_pk_mul_f32 v[28:29], v[0:1], v[28:29]
	s_waitcnt vmcnt(3)
	v_mov_b32_e32 v0, v9
	v_pk_fma_f32 v[40:41], v[38:39], v[36:37], v[28:29]
	v_pk_fma_f32 v[28:29], v[38:39], v[36:37], v[28:29] neg_lo:[0,0,1] neg_hi:[0,0,1]
	v_pk_fma_f32 v[36:37], v[4:5], v[30:31], v[40:41]
	v_pk_fma_f32 v[38:39], v[4:5], v[30:31], v[40:41] op_sel_hi:[0,1,1] neg_lo:[1,0,0] neg_hi:[1,0,0]
	v_mov_b32_e32 v37, v39
	v_pk_fma_f32 v[4:5], v[4:5], v[30:31], v[28:29] op_sel_hi:[0,1,1] neg_lo:[1,0,0] neg_hi:[1,0,0]
	ds_write_b64 v131, v[36:37]
	ds_write_b64 v6, v[4:5] offset:9568
	ds_read_b64 v[4:5], v23
	ds_read_b64 v[28:29], v6 offset:9152
	global_load_dwordx2 v[24:25], v[24:25], off
	v_mov_b32_e32 v30, v1
	v_mov_b32_e32 v31, v9
	s_waitcnt lgkmcnt(0)
	v_pk_add_f32 v[36:37], v[4:5], v[28:29]
	v_pk_add_f32 v[4:5], v[4:5], v[28:29] neg_lo:[0,1] neg_hi:[0,1]
	v_mov_b32_e32 v28, v37
	v_mov_b32_e32 v29, v4
	v_pk_mul_f32 v[28:29], v[28:29], 0.5 op_sel_hi:[1,0]
	s_nop 0
	v_mov_b32_e32 v4, v29
	v_mov_b32_e32 v37, v28
	v_pk_mul_f32 v[4:5], v[0:1], v[4:5]
	s_waitcnt vmcnt(3)
	v_mov_b32_e32 v0, v11
	v_pk_fma_f32 v[38:39], v[36:37], v[30:31], v[4:5]
	v_pk_fma_f32 v[4:5], v[36:37], v[30:31], v[4:5] neg_lo:[0,0,1] neg_hi:[0,0,1]
	v_pk_fma_f32 v[30:31], v[8:9], v[28:29], v[38:39]
	v_pk_fma_f32 v[36:37], v[8:9], v[28:29], v[38:39] op_sel_hi:[0,1,1] neg_lo:[1,0,0] neg_hi:[1,0,0]
	v_mov_b32_e32 v31, v37
	v_pk_fma_f32 v[4:5], v[8:9], v[28:29], v[4:5] op_sel_hi:[0,1,1] neg_lo:[1,0,0] neg_hi:[1,0,0]
	ds_write_b64 v23, v[30:31]
	ds_write_b64 v6, v[4:5] offset:9152
	ds_read_b64 v[4:5], v22
	ds_read_b64 v[8:9], v6 offset:8736
	global_load_dwordx2 v[26:27], v[26:27], off
	v_mov_b32_e32 v28, v1
	v_mov_b32_e32 v29, v11
	s_waitcnt lgkmcnt(0)
	v_pk_add_f32 v[30:31], v[4:5], v[8:9]
	v_pk_add_f32 v[4:5], v[4:5], v[8:9] neg_lo:[0,1] neg_hi:[0,1]
	v_mov_b32_e32 v8, v31
	v_mov_b32_e32 v9, v4
	v_pk_mul_f32 v[8:9], v[8:9], 0.5 op_sel_hi:[1,0]
	s_nop 0
	v_mov_b32_e32 v4, v9
	v_mov_b32_e32 v31, v8
	v_pk_mul_f32 v[4:5], v[0:1], v[4:5]
	s_waitcnt vmcnt(3)
	v_mov_b32_e32 v0, v13
	v_pk_fma_f32 v[36:37], v[30:31], v[28:29], v[4:5]
	v_pk_fma_f32 v[4:5], v[30:31], v[28:29], v[4:5] neg_lo:[0,0,1] neg_hi:[0,0,1]
	v_pk_fma_f32 v[28:29], v[10:11], v[8:9], v[36:37]
	v_pk_fma_f32 v[30:31], v[10:11], v[8:9], v[36:37] op_sel_hi:[0,1,1] neg_lo:[1,0,0] neg_hi:[1,0,0]
	v_mov_b32_e32 v29, v31
	v_pk_fma_f32 v[4:5], v[10:11], v[8:9], v[4:5] op_sel_hi:[0,1,1] neg_lo:[1,0,0] neg_hi:[1,0,0]
	ds_write_b64 v22, v[28:29]
	ds_write_b64 v6, v[4:5] offset:8736
	ds_read_b64 v[4:5], v21
	ds_read_b64 v[8:9], v6 offset:8320
	v_mov_b32_e32 v10, v1
	v_mov_b32_e32 v11, v13
	global_load_dwordx2 v[22:23], v[32:33], off
	s_waitcnt lgkmcnt(0)
	v_pk_add_f32 v[28:29], v[4:5], v[8:9]
	v_pk_add_f32 v[4:5], v[4:5], v[8:9] neg_lo:[0,1] neg_hi:[0,1]
	v_mov_b32_e32 v8, v29
	v_mov_b32_e32 v9, v4
	v_pk_mul_f32 v[8:9], v[8:9], 0.5 op_sel_hi:[1,0]
	s_nop 0
	v_mov_b32_e32 v4, v9
	v_mov_b32_e32 v29, v8
	v_pk_mul_f32 v[4:5], v[0:1], v[4:5]
	s_waitcnt vmcnt(3)
	v_mov_b32_e32 v0, v3
	v_pk_fma_f32 v[30:31], v[28:29], v[10:11], v[4:5]
	v_pk_fma_f32 v[4:5], v[28:29], v[10:11], v[4:5] neg_lo:[0,0,1] neg_hi:[0,0,1]
	v_pk_fma_f32 v[10:11], v[12:13], v[8:9], v[30:31]
	v_pk_fma_f32 v[28:29], v[12:13], v[8:9], v[30:31] op_sel_hi:[0,1,1] neg_lo:[1,0,0] neg_hi:[1,0,0]
	v_mov_b32_e32 v11, v29
	v_pk_fma_f32 v[4:5], v[12:13], v[8:9], v[4:5] op_sel_hi:[0,1,1] neg_lo:[1,0,0] neg_hi:[1,0,0]
	ds_write_b64 v21, v[10:11]
	ds_write_b64 v6, v[4:5] offset:8320
	ds_read_b64 v[4:5], v20
	ds_read_b64 v[8:9], v6 offset:7904
	v_mov_b32_e32 v10, v1
	v_mov_b32_e32 v11, v3
	global_load_dwordx2 v[12:13], v[34:35], off
	s_waitcnt lgkmcnt(0)
	v_pk_add_f32 v[28:29], v[4:5], v[8:9]
	v_pk_add_f32 v[4:5], v[4:5], v[8:9] neg_lo:[0,1] neg_hi:[0,1]
	v_mov_b32_e32 v8, v29
	v_mov_b32_e32 v9, v4
	v_pk_mul_f32 v[8:9], v[8:9], 0.5 op_sel_hi:[1,0]
	s_nop 0
	v_mov_b32_e32 v4, v9
	v_mov_b32_e32 v29, v8
	v_pk_mul_f32 v[4:5], v[0:1], v[4:5]
	s_waitcnt vmcnt(3)
	v_mov_b32_e32 v0, v25
	v_pk_fma_f32 v[30:31], v[28:29], v[10:11], v[4:5]
	v_pk_fma_f32 v[4:5], v[28:29], v[10:11], v[4:5] neg_lo:[0,0,1] neg_hi:[0,0,1]
	v_pk_fma_f32 v[10:11], v[2:3], v[8:9], v[30:31]
	v_pk_fma_f32 v[28:29], v[2:3], v[8:9], v[30:31] op_sel_hi:[0,1,1] neg_lo:[1,0,0] neg_hi:[1,0,0]
	v_mov_b32_e32 v11, v29
	v_pk_fma_f32 v[2:3], v[2:3], v[8:9], v[4:5] op_sel_hi:[0,1,1] neg_lo:[1,0,0] neg_hi:[1,0,0]
	ds_write_b64 v20, v[10:11]
	ds_write_b64 v6, v[2:3] offset:7904
	ds_read_b64 v[2:3], v19
	ds_read_b64 v[4:5], v6 offset:7488
	v_mov_b32_e32 v10, v1
	v_mov_b32_e32 v11, v25
	v_lshl_add_u64 v[8:9], v[78:79], 3, s[2:3]
	s_waitcnt lgkmcnt(0)
	v_pk_add_f32 v[20:21], v[2:3], v[4:5]
	v_pk_add_f32 v[2:3], v[2:3], v[4:5] neg_lo:[0,1] neg_hi:[0,1]
	v_mov_b32_e32 v4, v21
	v_mov_b32_e32 v5, v2
	v_pk_mul_f32 v[4:5], v[4:5], 0.5 op_sel_hi:[1,0]
	s_nop 0
	v_mov_b32_e32 v2, v5
	v_mov_b32_e32 v21, v4
	v_pk_mul_f32 v[2:3], v[0:1], v[2:3]
	s_waitcnt vmcnt(2)
	v_mov_b32_e32 v0, v27
	v_pk_fma_f32 v[28:29], v[20:21], v[10:11], v[2:3]
	v_pk_fma_f32 v[2:3], v[20:21], v[10:11], v[2:3] neg_lo:[0,0,1] neg_hi:[0,0,1]
	v_pk_fma_f32 v[10:11], v[24:25], v[4:5], v[28:29]
	v_pk_fma_f32 v[20:21], v[24:25], v[4:5], v[28:29] op_sel_hi:[0,1,1] neg_lo:[1,0,0] neg_hi:[1,0,0]
	v_mov_b32_e32 v11, v21
	v_pk_fma_f32 v[2:3], v[24:25], v[4:5], v[2:3] op_sel_hi:[0,1,1] neg_lo:[1,0,0] neg_hi:[1,0,0]
	ds_write_b64 v19, v[10:11]
	ds_write_b64 v6, v[2:3] offset:7488
	ds_read_b64 v[2:3], v18
	ds_read_b64 v[4:5], v6 offset:7072
	global_load_dwordx2 v[8:9], v[8:9], off
	v_mov_b32_e32 v10, v1
	v_mov_b32_e32 v11, v27
	s_waitcnt lgkmcnt(0)
	v_pk_add_f32 v[20:21], v[2:3], v[4:5]
	v_pk_add_f32 v[2:3], v[2:3], v[4:5] neg_lo:[0,1] neg_hi:[0,1]
	v_mov_b32_e32 v4, v21
	v_mov_b32_e32 v5, v2
	v_pk_mul_f32 v[4:5], v[4:5], 0.5 op_sel_hi:[1,0]
	s_nop 0
	v_mov_b32_e32 v2, v5
	v_mov_b32_e32 v21, v4
	v_pk_mul_f32 v[2:3], v[0:1], v[2:3]
	s_waitcnt vmcnt(2)
	v_mov_b32_e32 v0, v23
	v_pk_fma_f32 v[24:25], v[20:21], v[10:11], v[2:3]
	v_pk_fma_f32 v[2:3], v[20:21], v[10:11], v[2:3] neg_lo:[0,0,1] neg_hi:[0,0,1]
	v_pk_fma_f32 v[10:11], v[26:27], v[4:5], v[24:25]
	v_pk_fma_f32 v[20:21], v[26:27], v[4:5], v[24:25] op_sel_hi:[0,1,1] neg_lo:[1,0,0] neg_hi:[1,0,0]
	v_mov_b32_e32 v11, v21
	v_pk_fma_f32 v[2:3], v[26:27], v[4:5], v[2:3] op_sel_hi:[0,1,1] neg_lo:[1,0,0] neg_hi:[1,0,0]
	ds_write_b64 v18, v[10:11]
	ds_write_b64 v6, v[2:3] offset:7072
	v_lshl_add_u64 v[10:11], v[76:77], 3, s[2:3]
	ds_read_b64 v[2:3], v17
	ds_read_b64 v[4:5], v6 offset:6656
	global_load_dwordx2 v[10:11], v[10:11], off
	v_mov_b32_e32 v20, v1
	v_mov_b32_e32 v21, v23
	s_waitcnt lgkmcnt(0)
	v_pk_add_f32 v[18:19], v[2:3], v[4:5]
	v_pk_add_f32 v[2:3], v[2:3], v[4:5] neg_lo:[0,1] neg_hi:[0,1]
	v_mov_b32_e32 v4, v19
	v_mov_b32_e32 v5, v2
	v_pk_mul_f32 v[4:5], v[4:5], 0.5 op_sel_hi:[1,0]
	s_nop 0
	v_mov_b32_e32 v2, v5
	v_pk_mul_f32 v[2:3], v[0:1], v[2:3]
	v_mov_b32_e32 v19, v4
	v_pk_fma_f32 v[24:25], v[18:19], v[20:21], v[2:3]
	v_pk_fma_f32 v[2:3], v[18:19], v[20:21], v[2:3] neg_lo:[0,0,1] neg_hi:[0,0,1]
	v_pk_fma_f32 v[26:27], v[22:23], v[4:5], v[24:25]
	v_pk_fma_f32 v[24:25], v[22:23], v[4:5], v[24:25] op_sel_hi:[0,1,1] neg_lo:[1,0,0] neg_hi:[1,0,0]
	v_mov_b32_e32 v27, v25
	v_pk_fma_f32 v[2:3], v[22:23], v[4:5], v[2:3] op_sel_hi:[0,1,1] neg_lo:[1,0,0] neg_hi:[1,0,0]
	ds_write_b64 v17, v[26:27]
	ds_write_b64 v6, v[2:3] offset:6656
	ds_read_b64 v[2:3], v16
	ds_read_b64 v[4:5], v6 offset:6240
	s_waitcnt vmcnt(2)
	v_mov_b32_e32 v0, v13
	v_mov_b32_e32 v21, v13
	s_waitcnt lgkmcnt(0)
	v_pk_add_f32 v[18:19], v[2:3], v[4:5]
	v_pk_add_f32 v[2:3], v[2:3], v[4:5] neg_lo:[0,1] neg_hi:[0,1]
	v_mov_b32_e32 v4, v19
	v_mov_b32_e32 v5, v2
	v_pk_mul_f32 v[4:5], v[4:5], 0.5 op_sel_hi:[1,0]
	s_waitcnt vmcnt(1)
	v_mov_b32_e32 v17, v9
	v_mov_b32_e32 v2, v5
	v_pk_mul_f32 v[2:3], v[0:1], v[2:3]
	v_mov_b32_e32 v19, v4
	v_pk_fma_f32 v[22:23], v[18:19], v[20:21], v[2:3]
	v_pk_fma_f32 v[2:3], v[18:19], v[20:21], v[2:3] neg_lo:[0,0,1] neg_hi:[0,0,1]
	v_pk_fma_f32 v[24:25], v[12:13], v[4:5], v[22:23]
	v_pk_fma_f32 v[22:23], v[12:13], v[4:5], v[22:23] op_sel_hi:[0,1,1] neg_lo:[1,0,0] neg_hi:[1,0,0]
	v_mov_b32_e32 v25, v23
	v_pk_fma_f32 v[2:3], v[12:13], v[4:5], v[2:3] op_sel_hi:[0,1,1] neg_lo:[1,0,0] neg_hi:[1,0,0]
	ds_write_b64 v16, v[24:25]
	ds_write_b64 v6, v[2:3] offset:6240
	ds_read_b64 v[2:3], v15
	ds_read_b64 v[4:5], v6 offset:5824
	v_mov_b32_e32 v0, v9
	v_mov_b32_e32 v16, v1
	s_waitcnt lgkmcnt(0)
	v_pk_add_f32 v[12:13], v[2:3], v[4:5]
	v_pk_add_f32 v[2:3], v[2:3], v[4:5] neg_lo:[0,1] neg_hi:[0,1]
	v_mov_b32_e32 v4, v13
	v_mov_b32_e32 v5, v2
	v_pk_mul_f32 v[4:5], v[4:5], 0.5 op_sel_hi:[1,0]
	s_nop 0
	v_mov_b32_e32 v2, v5
	v_pk_mul_f32 v[2:3], v[0:1], v[2:3]
	v_mov_b32_e32 v13, v4
	v_pk_fma_f32 v[18:19], v[12:13], v[16:17], v[2:3]
	v_pk_fma_f32 v[2:3], v[12:13], v[16:17], v[2:3] neg_lo:[0,0,1] neg_hi:[0,0,1]
	v_pk_fma_f32 v[20:21], v[8:9], v[4:5], v[18:19]
	v_pk_fma_f32 v[18:19], v[8:9], v[4:5], v[18:19] op_sel_hi:[0,1,1] neg_lo:[1,0,0] neg_hi:[1,0,0]
	v_mov_b32_e32 v21, v19
	v_pk_fma_f32 v[2:3], v[8:9], v[4:5], v[2:3] op_sel_hi:[0,1,1] neg_lo:[1,0,0] neg_hi:[1,0,0]
	ds_write_b64 v15, v[20:21]
	ds_write_b64 v6, v[2:3] offset:5824
	ds_read_b64 v[2:3], v14
	ds_read_b64 v[4:5], v6 offset:5408
	s_waitcnt vmcnt(0)
	v_mov_b32_e32 v0, v11
	s_waitcnt lgkmcnt(0)
	v_pk_add_f32 v[8:9], v[2:3], v[4:5]
	v_pk_add_f32 v[2:3], v[2:3], v[4:5] neg_lo:[0,1] neg_hi:[0,1]
	v_mov_b32_e32 v4, v9
	v_mov_b32_e32 v5, v2
	v_pk_mul_f32 v[4:5], v[4:5], 0.5 op_sel_hi:[1,0]
	s_nop 0
	v_mov_b32_e32 v2, v5
	v_pk_mul_f32 v[2:3], v[0:1], v[2:3]
	v_mov_b32_e32 v9, v4
	v_mov_b32_e32 v0, v1
	;; [unrolled: 1-line block ×3, first 2 shown]
	v_pk_fma_f32 v[12:13], v[8:9], v[0:1], v[2:3]
	v_pk_fma_f32 v[0:1], v[8:9], v[0:1], v[2:3] neg_lo:[0,0,1] neg_hi:[0,0,1]
	v_pk_fma_f32 v[16:17], v[10:11], v[4:5], v[12:13]
	v_pk_fma_f32 v[12:13], v[10:11], v[4:5], v[12:13] op_sel_hi:[0,1,1] neg_lo:[1,0,0] neg_hi:[1,0,0]
	v_mov_b32_e32 v17, v13
	v_pk_fma_f32 v[0:1], v[10:11], v[4:5], v[0:1] op_sel_hi:[0,1,1] neg_lo:[1,0,0] neg_hi:[1,0,0]
	ds_write_b64 v14, v[16:17]
	ds_write_b64 v6, v[0:1] offset:5408
	s_waitcnt lgkmcnt(0)
	; wave barrier
	s_waitcnt lgkmcnt(0)
	s_and_saveexec_b64 s[2:3], s[0:1]
	s_cbranch_execz .LBB0_24
; %bb.22:
	ds_read2_b64 v[0:3], v130 offset1:52
	ds_read2_b64 v[4:7], v130 offset0:104 offset1:156
	v_lshl_add_u64 v[12:13], v[72:73], 3, v[74:75]
	s_movk_i32 s0, 0x1000
	v_add_co_u32_e32 v14, vcc, s0, v12
	s_waitcnt lgkmcnt(1)
	global_store_dwordx2 v[12:13], v[0:1], off
	global_store_dwordx2 v[12:13], v[2:3], off offset:416
	s_waitcnt lgkmcnt(0)
	global_store_dwordx2 v[12:13], v[4:5], off offset:832
	v_add_u32_e32 v0, 0x400, v130
	ds_read2_b64 v[0:3], v0 offset0:80 offset1:132
	v_add_u32_e32 v4, 0x800, v130
	ds_read2_b64 v[8:11], v4 offset0:56 offset1:108
	global_store_dwordx2 v[12:13], v[6:7], off offset:1248
	ds_read2_b64 v[4:7], v4 offset0:160 offset1:212
	s_waitcnt lgkmcnt(2)
	global_store_dwordx2 v[12:13], v[0:1], off offset:1664
	global_store_dwordx2 v[12:13], v[2:3], off offset:2080
	s_waitcnt lgkmcnt(1)
	global_store_dwordx2 v[12:13], v[8:9], off offset:2496
	global_store_dwordx2 v[12:13], v[10:11], off offset:2912
	;; [unrolled: 3-line block ×3, first 2 shown]
	v_add_u32_e32 v4, 0x1000, v130
	ds_read2_b64 v[0:3], v4 offset0:8 offset1:60
	ds_read2_b64 v[4:7], v4 offset0:112 offset1:164
	v_add_u32_e32 v8, 0x1400, v130
	v_addc_co_u32_e32 v15, vcc, 0, v13, vcc
	ds_read2_b64 v[8:11], v8 offset0:88 offset1:140
	s_waitcnt lgkmcnt(2)
	global_store_dwordx2 v[14:15], v[0:1], off offset:64
	global_store_dwordx2 v[14:15], v[2:3], off offset:480
	s_waitcnt lgkmcnt(1)
	global_store_dwordx2 v[14:15], v[4:5], off offset:896
	global_store_dwordx2 v[14:15], v[6:7], off offset:1312
	;; [unrolled: 3-line block ×3, first 2 shown]
	v_add_u32_e32 v1, 0x1800, v130
	ds_read2_b64 v[2:5], v1 offset0:64 offset1:116
	ds_read2_b64 v[6:9], v1 offset0:168 offset1:220
	v_or_b32_e32 v0, 0x340, v72
	v_mov_b32_e32 v1, 0
	v_lshl_add_u64 v[10:11], v[0:1], 3, v[74:75]
	s_waitcnt lgkmcnt(1)
	global_store_dwordx2 v[10:11], v[2:3], off
	global_store_dwordx2 v[14:15], v[4:5], off offset:2976
	s_waitcnt lgkmcnt(0)
	global_store_dwordx2 v[14:15], v[6:7], off offset:3392
	global_store_dwordx2 v[14:15], v[8:9], off offset:3808
	v_add_u32_e32 v0, 0x2000, v130
	ds_read2_b64 v[2:5], v0 offset0:16 offset1:68
	v_add_co_u32_e32 v10, vcc, 0x2000, v12
	ds_read2_b64 v[6:9], v0 offset0:120 offset1:172
	s_nop 0
	v_addc_co_u32_e32 v11, vcc, 0, v13, vcc
	v_cmp_eq_u32_e32 vcc, 51, v72
	s_waitcnt lgkmcnt(1)
	global_store_dwordx2 v[10:11], v[2:3], off offset:128
	global_store_dwordx2 v[10:11], v[4:5], off offset:544
	s_waitcnt lgkmcnt(0)
	global_store_dwordx2 v[10:11], v[6:7], off offset:960
	global_store_dwordx2 v[10:11], v[8:9], off offset:1376
	s_and_b64 exec, exec, vcc
	s_cbranch_execz .LBB0_24
; %bb.23:
	ds_read_b64 v[0:1], v1 offset:9984
	v_add_co_u32_e32 v2, vcc, 0x2000, v74
	s_nop 1
	v_addc_co_u32_e32 v3, vcc, 0, v75, vcc
	s_waitcnt lgkmcnt(0)
	global_store_dwordx2 v[2:3], v[0:1], off offset:1792
.LBB0_24:
	s_endpgm
	.section	.rodata,"a",@progbits
	.p2align	6, 0x0
	.amdhsa_kernel fft_rtc_back_len1248_factors_2_2_13_2_3_2_2_wgs_52_tpt_52_halfLds_sp_ip_CI_unitstride_sbrr_R2C_dirReg
		.amdhsa_group_segment_fixed_size 0
		.amdhsa_private_segment_fixed_size 0
		.amdhsa_kernarg_size 88
		.amdhsa_user_sgpr_count 2
		.amdhsa_user_sgpr_dispatch_ptr 0
		.amdhsa_user_sgpr_queue_ptr 0
		.amdhsa_user_sgpr_kernarg_segment_ptr 1
		.amdhsa_user_sgpr_dispatch_id 0
		.amdhsa_user_sgpr_kernarg_preload_length 0
		.amdhsa_user_sgpr_kernarg_preload_offset 0
		.amdhsa_user_sgpr_private_segment_size 0
		.amdhsa_uses_dynamic_stack 0
		.amdhsa_enable_private_segment 0
		.amdhsa_system_sgpr_workgroup_id_x 1
		.amdhsa_system_sgpr_workgroup_id_y 0
		.amdhsa_system_sgpr_workgroup_id_z 0
		.amdhsa_system_sgpr_workgroup_info 0
		.amdhsa_system_vgpr_workitem_id 0
		.amdhsa_next_free_vgpr 242
		.amdhsa_next_free_sgpr 44
		.amdhsa_accum_offset 244
		.amdhsa_reserve_vcc 1
		.amdhsa_float_round_mode_32 0
		.amdhsa_float_round_mode_16_64 0
		.amdhsa_float_denorm_mode_32 3
		.amdhsa_float_denorm_mode_16_64 3
		.amdhsa_dx10_clamp 1
		.amdhsa_ieee_mode 1
		.amdhsa_fp16_overflow 0
		.amdhsa_tg_split 0
		.amdhsa_exception_fp_ieee_invalid_op 0
		.amdhsa_exception_fp_denorm_src 0
		.amdhsa_exception_fp_ieee_div_zero 0
		.amdhsa_exception_fp_ieee_overflow 0
		.amdhsa_exception_fp_ieee_underflow 0
		.amdhsa_exception_fp_ieee_inexact 0
		.amdhsa_exception_int_div_zero 0
	.end_amdhsa_kernel
	.text
.Lfunc_end0:
	.size	fft_rtc_back_len1248_factors_2_2_13_2_3_2_2_wgs_52_tpt_52_halfLds_sp_ip_CI_unitstride_sbrr_R2C_dirReg, .Lfunc_end0-fft_rtc_back_len1248_factors_2_2_13_2_3_2_2_wgs_52_tpt_52_halfLds_sp_ip_CI_unitstride_sbrr_R2C_dirReg
                                        ; -- End function
	.section	.AMDGPU.csdata,"",@progbits
; Kernel info:
; codeLenInByte = 17112
; NumSgprs: 50
; NumVgprs: 242
; NumAgprs: 0
; TotalNumVgprs: 242
; ScratchSize: 0
; MemoryBound: 0
; FloatMode: 240
; IeeeMode: 1
; LDSByteSize: 0 bytes/workgroup (compile time only)
; SGPRBlocks: 6
; VGPRBlocks: 30
; NumSGPRsForWavesPerEU: 50
; NumVGPRsForWavesPerEU: 242
; AccumOffset: 244
; Occupancy: 2
; WaveLimiterHint : 1
; COMPUTE_PGM_RSRC2:SCRATCH_EN: 0
; COMPUTE_PGM_RSRC2:USER_SGPR: 2
; COMPUTE_PGM_RSRC2:TRAP_HANDLER: 0
; COMPUTE_PGM_RSRC2:TGID_X_EN: 1
; COMPUTE_PGM_RSRC2:TGID_Y_EN: 0
; COMPUTE_PGM_RSRC2:TGID_Z_EN: 0
; COMPUTE_PGM_RSRC2:TIDIG_COMP_CNT: 0
; COMPUTE_PGM_RSRC3_GFX90A:ACCUM_OFFSET: 60
; COMPUTE_PGM_RSRC3_GFX90A:TG_SPLIT: 0
	.text
	.p2alignl 6, 3212836864
	.fill 256, 4, 3212836864
	.type	__hip_cuid_98e17ece898d892a,@object ; @__hip_cuid_98e17ece898d892a
	.section	.bss,"aw",@nobits
	.globl	__hip_cuid_98e17ece898d892a
__hip_cuid_98e17ece898d892a:
	.byte	0                               ; 0x0
	.size	__hip_cuid_98e17ece898d892a, 1

	.ident	"AMD clang version 19.0.0git (https://github.com/RadeonOpenCompute/llvm-project roc-6.4.0 25133 c7fe45cf4b819c5991fe208aaa96edf142730f1d)"
	.section	".note.GNU-stack","",@progbits
	.addrsig
	.addrsig_sym __hip_cuid_98e17ece898d892a
	.amdgpu_metadata
---
amdhsa.kernels:
  - .agpr_count:     0
    .args:
      - .actual_access:  read_only
        .address_space:  global
        .offset:         0
        .size:           8
        .value_kind:     global_buffer
      - .offset:         8
        .size:           8
        .value_kind:     by_value
      - .actual_access:  read_only
        .address_space:  global
        .offset:         16
        .size:           8
        .value_kind:     global_buffer
      - .actual_access:  read_only
        .address_space:  global
        .offset:         24
        .size:           8
        .value_kind:     global_buffer
      - .offset:         32
        .size:           8
        .value_kind:     by_value
      - .actual_access:  read_only
        .address_space:  global
        .offset:         40
        .size:           8
        .value_kind:     global_buffer
      - .actual_access:  read_only
        .address_space:  global
        .offset:         48
        .size:           8
        .value_kind:     global_buffer
      - .offset:         56
        .size:           4
        .value_kind:     by_value
      - .actual_access:  read_only
        .address_space:  global
        .offset:         64
        .size:           8
        .value_kind:     global_buffer
      - .actual_access:  read_only
        .address_space:  global
        .offset:         72
        .size:           8
        .value_kind:     global_buffer
      - .address_space:  global
        .offset:         80
        .size:           8
        .value_kind:     global_buffer
    .group_segment_fixed_size: 0
    .kernarg_segment_align: 8
    .kernarg_segment_size: 88
    .language:       OpenCL C
    .language_version:
      - 2
      - 0
    .max_flat_workgroup_size: 52
    .name:           fft_rtc_back_len1248_factors_2_2_13_2_3_2_2_wgs_52_tpt_52_halfLds_sp_ip_CI_unitstride_sbrr_R2C_dirReg
    .private_segment_fixed_size: 0
    .sgpr_count:     50
    .sgpr_spill_count: 0
    .symbol:         fft_rtc_back_len1248_factors_2_2_13_2_3_2_2_wgs_52_tpt_52_halfLds_sp_ip_CI_unitstride_sbrr_R2C_dirReg.kd
    .uniform_work_group_size: 1
    .uses_dynamic_stack: false
    .vgpr_count:     242
    .vgpr_spill_count: 0
    .wavefront_size: 64
amdhsa.target:   amdgcn-amd-amdhsa--gfx950
amdhsa.version:
  - 1
  - 2
...

	.end_amdgpu_metadata
